;; amdgpu-corpus repo=ROCm/rocFFT kind=compiled arch=gfx950 opt=O3
	.text
	.amdgcn_target "amdgcn-amd-amdhsa--gfx950"
	.amdhsa_code_object_version 6
	.protected	bluestein_single_fwd_len375_dim1_dp_op_CI_CI ; -- Begin function bluestein_single_fwd_len375_dim1_dp_op_CI_CI
	.globl	bluestein_single_fwd_len375_dim1_dp_op_CI_CI
	.p2align	8
	.type	bluestein_single_fwd_len375_dim1_dp_op_CI_CI,@function
bluestein_single_fwd_len375_dim1_dp_op_CI_CI: ; @bluestein_single_fwd_len375_dim1_dp_op_CI_CI
; %bb.0:
	s_load_dwordx4 s[12:15], s[0:1], 0x28
	v_mul_u32_u24_e32 v1, 0xa3e, v0
	v_lshrrev_b32_e32 v2, 16, v1
	v_mad_u64_u32 v[4:5], s[2:3], s2, 5, v[2:3]
	v_mov_b32_e32 v5, 0
	s_waitcnt lgkmcnt(0)
	v_cmp_gt_u64_e32 vcc, s[12:13], v[4:5]
	s_and_saveexec_b64 s[2:3], vcc
	s_cbranch_execz .LBB0_2
; %bb.1:
	s_load_dwordx4 s[4:7], s[0:1], 0x0
	s_load_dwordx4 s[8:11], s[0:1], 0x18
	s_load_dwordx2 s[2:3], s[0:1], 0x38
	s_mov_b32 s0, 0xcccccccd
	v_mul_hi_u32 v1, v4, s0
	v_lshrrev_b32_e32 v1, 2, v1
	v_lshl_add_u32 v1, v1, 2, v1
	s_waitcnt lgkmcnt(0)
	v_mov_b32_e32 v6, s2
	v_mov_b32_e32 v7, s3
	s_load_dwordx4 s[0:3], s[10:11], 0x0
	v_accvgpr_write_b32 a13, v7
	v_accvgpr_write_b32 a12, v6
	v_sub_u32_e32 v1, v4, v1
	v_mul_u32_u24_e32 v18, 0x177, v1
	s_waitcnt lgkmcnt(0)
	v_mad_u64_u32 v[10:11], s[10:11], s2, v4, 0
	s_load_dwordx4 s[8:11], s[8:9], 0x0
	v_mov_b32_e32 v6, v11
	v_mad_u64_u32 v[6:7], s[2:3], s3, v4, v[6:7]
	v_mov_b32_e32 v11, v6
	v_accvgpr_write_b32 a15, v11
	v_accvgpr_write_b32 a14, v10
	s_waitcnt lgkmcnt(0)
	v_mad_u64_u32 v[10:11], s[2:3], s10, v4, 0
	v_mov_b32_e32 v6, v11
	v_mad_u64_u32 v[6:7], s[2:3], s11, v4, v[6:7]
	v_mul_lo_u16_e32 v1, 25, v2
	v_mov_b32_e32 v11, v6
	v_sub_u16_e32 v6, v0, v1
	s_mov_b32 s2, 0
	v_mov_b32_e32 v7, s2
	v_mad_u64_u32 v[0:1], s[2:3], s8, v6, 0
	v_mov_b32_e32 v2, v1
	v_mov_b32_e32 v8, s14
	;; [unrolled: 1-line block ×3, first 2 shown]
	v_mad_u64_u32 v[2:3], s[2:3], s9, v6, v[2:3]
	v_mov_b32_e32 v1, v2
	v_lshl_add_u64 v[2:3], v[10:11], 4, v[8:9]
	v_lshl_add_u64 v[8:9], v[0:1], 4, v[2:3]
	v_lshlrev_b32_e32 v4, 4, v6
	global_load_dwordx4 v[12:15], v[8:9], off
	global_load_dwordx4 v[24:27], v4, s[4:5]
	v_lshlrev_b32_e32 v11, 4, v18
	v_lshl_add_u64 v[2:3], s[4:5], 0, v[4:5]
	v_mov_b32_e32 v5, 0xffffeed0
	s_mov_b32 s13, 0xbfee6f0e
	v_lshl_add_u64 v[208:209], v[6:7], 0, 25
	v_lshl_add_u64 v[210:211], v[6:7], 0, 50
	s_movk_i32 s14, 0xcd
	v_mov_b32_e32 v148, 6
	v_lshlrev_b32_e32 v224, 5, v6
	s_mov_b32 s15, 0xbfebb67a
	s_mov_b64 s[16:17], 0x1770
	s_waitcnt vmcnt(0)
	v_mul_f64 v[0:1], v[12:13], v[26:27]
	v_fma_f64 v[18:19], v[14:15], v[24:25], -v[0:1]
	v_mov_b32_e32 v1, 0x4b0
	v_mul_f64 v[16:17], v[14:15], v[26:27]
	v_mad_u64_u32 v[8:9], s[2:3], s8, v1, v[8:9]
	v_fmac_f64_e32 v[16:17], v[12:13], v[24:25]
	v_add_u32_e32 v0, v4, v11
	s_mul_i32 s2, s9, 0x4b0
	ds_write_b128 v0, v[16:19]
	v_add_u32_e32 v9, s2, v9
	global_load_dwordx4 v[12:15], v[8:9], off
	global_load_dwordx4 v[36:39], v4, s[4:5] offset:1200
	v_mad_u64_u32 v[8:9], s[10:11], s8, v1, v[8:9]
	v_add_u32_e32 v9, s2, v9
	s_movk_i32 s3, 0x1000
	v_add_co_u32_e32 v240, vcc, s3, v2
	s_mul_i32 s3, s9, 0xffffeed0
	s_nop 0
	v_addc_co_u32_e32 v241, vcc, 0, v3, vcc
	s_sub_i32 s3, s3, s8
	s_waitcnt vmcnt(0)
	v_mul_f64 v[16:17], v[14:15], v[38:39]
	v_fmac_f64_e32 v[16:17], v[12:13], v[36:37]
	v_mul_f64 v[12:13], v[12:13], v[38:39]
	v_fma_f64 v[18:19], v[14:15], v[36:37], -v[12:13]
	ds_write_b128 v0, v[16:19] offset:1200
	global_load_dwordx4 v[12:15], v[8:9], off
	global_load_dwordx4 v[44:47], v4, s[4:5] offset:2400
	v_mad_u64_u32 v[8:9], s[10:11], s8, v1, v[8:9]
	v_add_u32_e32 v9, s2, v9
	s_waitcnt vmcnt(0)
	v_mul_f64 v[16:17], v[14:15], v[46:47]
	v_fmac_f64_e32 v[16:17], v[12:13], v[44:45]
	v_mul_f64 v[12:13], v[12:13], v[46:47]
	v_fma_f64 v[18:19], v[14:15], v[44:45], -v[12:13]
	ds_write_b128 v0, v[16:19] offset:2400
	global_load_dwordx4 v[12:15], v[8:9], off
	global_load_dwordx4 v[52:55], v4, s[4:5] offset:3600
	v_mad_u64_u32 v[8:9], s[10:11], s8, v1, v[8:9]
	v_add_u32_e32 v9, s2, v9
	global_load_dwordx4 v[56:59], v[240:241], off offset:704
	s_waitcnt vmcnt(1)
	v_mul_f64 v[16:17], v[14:15], v[54:55]
	v_fmac_f64_e32 v[16:17], v[12:13], v[52:53]
	v_mul_f64 v[12:13], v[12:13], v[54:55]
	v_fma_f64 v[18:19], v[14:15], v[52:53], -v[12:13]
	global_load_dwordx4 v[12:15], v[8:9], off
	ds_write_b128 v0, v[16:19] offset:3600
	v_mad_u64_u32 v[8:9], s[10:11], s8, v5, v[8:9]
	v_add_u32_e32 v9, s3, v9
	v_mov_b32_e32 v5, 0xffffeed0
	s_waitcnt vmcnt(0)
	v_mul_f64 v[16:17], v[14:15], v[58:59]
	v_fmac_f64_e32 v[16:17], v[12:13], v[56:57]
	v_mul_f64 v[12:13], v[12:13], v[58:59]
	v_fma_f64 v[18:19], v[14:15], v[56:57], -v[12:13]
	ds_write_b128 v0, v[16:19] offset:4800
	global_load_dwordx4 v[12:15], v[8:9], off
	global_load_dwordx4 v[20:23], v4, s[4:5] offset:400
	v_mad_u64_u32 v[8:9], s[10:11], s8, v1, v[8:9]
	v_add_u32_e32 v9, s2, v9
	s_waitcnt vmcnt(0)
	v_mul_f64 v[16:17], v[14:15], v[22:23]
	v_fmac_f64_e32 v[16:17], v[12:13], v[20:21]
	v_mul_f64 v[12:13], v[12:13], v[22:23]
	v_fma_f64 v[18:19], v[14:15], v[20:21], -v[12:13]
	ds_write_b128 v0, v[16:19] offset:400
	global_load_dwordx4 v[12:15], v[8:9], off
	global_load_dwordx4 v[28:31], v4, s[4:5] offset:1600
	v_mad_u64_u32 v[8:9], s[10:11], s8, v1, v[8:9]
	v_add_u32_e32 v9, s2, v9
	;; [unrolled: 10-line block ×4, first 2 shown]
	s_waitcnt vmcnt(0)
	v_mul_f64 v[16:17], v[14:15], v[42:43]
	v_fmac_f64_e32 v[16:17], v[12:13], v[40:41]
	v_mul_f64 v[12:13], v[12:13], v[42:43]
	v_fma_f64 v[18:19], v[14:15], v[40:41], -v[12:13]
	ds_write_b128 v0, v[16:19] offset:4000
	global_load_dwordx4 v[12:15], v[8:9], off
	global_load_dwordx4 v[48:51], v[240:241], off offset:1104
	v_mad_u64_u32 v[8:9], s[10:11], s8, v5, v[8:9]
	v_add_u32_e32 v9, s3, v9
	s_waitcnt vmcnt(0)
	v_mul_f64 v[16:17], v[14:15], v[50:51]
	v_fmac_f64_e32 v[16:17], v[12:13], v[48:49]
	v_mul_f64 v[12:13], v[12:13], v[50:51]
	v_fma_f64 v[18:19], v[14:15], v[48:49], -v[12:13]
	ds_write_b128 v0, v[16:19] offset:5200
	global_load_dwordx4 v[16:19], v[8:9], off
	global_load_dwordx4 v[12:15], v4, s[4:5] offset:800
	v_mad_u64_u32 v[8:9], s[10:11], s8, v1, v[8:9]
	v_add_u32_e32 v9, s2, v9
	s_waitcnt vmcnt(0)
	v_mul_f64 v[60:61], v[18:19], v[14:15]
	v_fmac_f64_e32 v[60:61], v[16:17], v[12:13]
	v_mul_f64 v[16:17], v[16:17], v[14:15]
	v_fma_f64 v[62:63], v[18:19], v[12:13], -v[16:17]
	ds_write_b128 v0, v[60:63] offset:800
	global_load_dwordx4 v[60:63], v[8:9], off
	global_load_dwordx4 v[16:19], v4, s[4:5] offset:2000
	v_mad_u64_u32 v[8:9], s[10:11], s8, v1, v[8:9]
	v_add_u32_e32 v9, s2, v9
	s_mov_b32 s11, 0xbfe2cf23
	s_waitcnt vmcnt(0)
	v_mul_f64 v[64:65], v[62:63], v[18:19]
	v_fmac_f64_e32 v[64:65], v[60:61], v[16:17]
	v_mul_f64 v[60:61], v[60:61], v[18:19]
	v_fma_f64 v[66:67], v[62:63], v[16:17], -v[60:61]
	ds_write_b128 v0, v[64:67] offset:2000
	global_load_dwordx4 v[60:63], v[8:9], off
	global_load_dwordx4 v[68:71], v4, s[4:5] offset:3200
	s_waitcnt vmcnt(0)
	v_mul_f64 v[64:65], v[62:63], v[70:71]
	v_mul_f64 v[4:5], v[60:61], v[70:71]
	v_fmac_f64_e32 v[64:65], v[60:61], v[68:69]
	v_fma_f64 v[66:67], v[62:63], v[68:69], -v[4:5]
	v_mad_u64_u32 v[4:5], s[4:5], s8, v1, v[8:9]
	v_accvgpr_write_b32 a8, v68
	ds_write_b128 v0, v[64:67] offset:3200
	v_add_u32_e32 v5, s2, v5
	v_accvgpr_write_b32 a9, v69
	v_accvgpr_write_b32 a10, v70
	;; [unrolled: 1-line block ×3, first 2 shown]
	global_load_dwordx4 v[60:63], v[4:5], off
	global_load_dwordx4 v[68:71], v[240:241], off offset:304
	v_mad_u64_u32 v[4:5], s[4:5], s8, v1, v[4:5]
	v_add_u32_e32 v5, s2, v5
	s_mov_b32 s2, 0x134454ff
	s_mov_b32 s3, 0x3fee6f0e
	;; [unrolled: 1-line block ×8, first 2 shown]
	s_waitcnt vmcnt(0)
	v_mul_f64 v[64:65], v[62:63], v[70:71]
	v_mul_f64 v[8:9], v[60:61], v[70:71]
	v_fmac_f64_e32 v[64:65], v[60:61], v[68:69]
	v_fma_f64 v[66:67], v[62:63], v[68:69], -v[8:9]
	v_accvgpr_write_b32 a0, v68
	ds_write_b128 v0, v[64:67] offset:4400
	v_accvgpr_write_b32 a1, v69
	v_accvgpr_write_b32 a2, v70
	v_accvgpr_write_b32 a3, v71
	global_load_dwordx4 v[60:63], v[4:5], off
	global_load_dwordx4 v[68:71], v[240:241], off offset:1504
	s_waitcnt vmcnt(0)
	v_mul_f64 v[64:65], v[62:63], v[70:71]
	v_mul_f64 v[4:5], v[60:61], v[70:71]
	v_fmac_f64_e32 v[64:65], v[60:61], v[68:69]
	v_fma_f64 v[66:67], v[62:63], v[68:69], -v[4:5]
	v_accvgpr_write_b32 a4, v68
	v_accvgpr_write_b32 a5, v69
	v_accvgpr_write_b32 a6, v70
	v_accvgpr_write_b32 a7, v71
	ds_write_b128 v0, v[64:67] offset:5600
	s_waitcnt lgkmcnt(0)
	s_barrier
	ds_read_b128 v[60:63], v0
	ds_read_b128 v[120:123], v0 offset:1200
	ds_read_b128 v[124:127], v0 offset:2400
	;; [unrolled: 1-line block ×14, first 2 shown]
	s_waitcnt lgkmcnt(13)
	v_add_f64 v[4:5], v[60:61], v[120:121]
	s_waitcnt lgkmcnt(12)
	v_add_f64 v[4:5], v[4:5], v[124:125]
	;; [unrolled: 2-line block ×4, first 2 shown]
	v_add_f64 v[4:5], v[124:125], v[128:129]
	v_fma_f64 v[76:77], -0.5, v[4:5], v[60:61]
	v_add_f64 v[4:5], v[122:123], -v[134:135]
	v_fma_f64 v[92:93], s[2:3], v[4:5], v[76:77]
	v_add_f64 v[8:9], v[126:127], -v[130:131]
	v_add_f64 v[78:79], v[120:121], -v[124:125]
	;; [unrolled: 1-line block ×3, first 2 shown]
	v_fmac_f64_e32 v[76:77], s[12:13], v[4:5]
	v_fmac_f64_e32 v[92:93], s[4:5], v[8:9]
	v_add_f64 v[78:79], v[78:79], v[86:87]
	v_fmac_f64_e32 v[76:77], s[10:11], v[8:9]
	v_fmac_f64_e32 v[92:93], s[8:9], v[78:79]
	;; [unrolled: 1-line block ×3, first 2 shown]
	v_add_f64 v[78:79], v[120:121], v[132:133]
	v_fmac_f64_e32 v[60:61], -0.5, v[78:79]
	v_fma_f64 v[112:113], s[12:13], v[8:9], v[60:61]
	v_fmac_f64_e32 v[60:61], s[2:3], v[8:9]
	v_fmac_f64_e32 v[112:113], s[4:5], v[4:5]
	;; [unrolled: 1-line block ×3, first 2 shown]
	v_add_f64 v[4:5], v[62:63], v[122:123]
	v_add_f64 v[4:5], v[4:5], v[126:127]
	v_add_f64 v[78:79], v[124:125], -v[120:121]
	v_add_f64 v[86:87], v[128:129], -v[132:133]
	v_add_f64 v[4:5], v[4:5], v[130:131]
	v_add_f64 v[78:79], v[78:79], v[86:87]
	;; [unrolled: 1-line block ×4, first 2 shown]
	v_fmac_f64_e32 v[112:113], s[8:9], v[78:79]
	v_fmac_f64_e32 v[60:61], s[8:9], v[78:79]
	v_fma_f64 v[78:79], -0.5, v[4:5], v[62:63]
	v_add_f64 v[4:5], v[120:121], -v[132:133]
	v_fma_f64 v[94:95], s[12:13], v[4:5], v[78:79]
	v_add_f64 v[8:9], v[124:125], -v[128:129]
	v_add_f64 v[114:115], v[122:123], -v[126:127]
	;; [unrolled: 1-line block ×3, first 2 shown]
	v_fmac_f64_e32 v[78:79], s[2:3], v[4:5]
	v_fmac_f64_e32 v[94:95], s[10:11], v[8:9]
	v_add_f64 v[114:115], v[114:115], v[120:121]
	v_fmac_f64_e32 v[78:79], s[4:5], v[8:9]
	v_fmac_f64_e32 v[94:95], s[8:9], v[114:115]
	;; [unrolled: 1-line block ×3, first 2 shown]
	v_add_f64 v[114:115], v[122:123], v[134:135]
	v_fmac_f64_e32 v[62:63], -0.5, v[114:115]
	v_fma_f64 v[114:115], s[2:3], v[8:9], v[62:63]
	v_fmac_f64_e32 v[62:63], s[12:13], v[8:9]
	v_fmac_f64_e32 v[114:115], s[10:11], v[4:5]
	;; [unrolled: 1-line block ×3, first 2 shown]
	s_waitcnt lgkmcnt(8)
	v_add_f64 v[4:5], v[64:65], v[100:101]
	v_add_f64 v[120:121], v[126:127], -v[122:123]
	v_add_f64 v[122:123], v[130:131], -v[134:135]
	s_waitcnt lgkmcnt(7)
	v_add_f64 v[4:5], v[4:5], v[104:105]
	v_add_f64 v[120:121], v[120:121], v[122:123]
	s_waitcnt lgkmcnt(6)
	v_add_f64 v[4:5], v[4:5], v[108:109]
	v_fmac_f64_e32 v[114:115], s[8:9], v[120:121]
	v_fmac_f64_e32 v[62:63], s[8:9], v[120:121]
	s_waitcnt lgkmcnt(5)
	v_add_f64 v[120:121], v[4:5], v[116:117]
	v_add_f64 v[4:5], v[104:105], v[108:109]
	v_fma_f64 v[124:125], -0.5, v[4:5], v[64:65]
	v_add_f64 v[4:5], v[102:103], -v[118:119]
	v_fma_f64 v[128:129], s[2:3], v[4:5], v[124:125]
	v_add_f64 v[8:9], v[106:107], -v[110:111]
	v_add_f64 v[122:123], v[100:101], -v[104:105]
	;; [unrolled: 1-line block ×3, first 2 shown]
	v_fmac_f64_e32 v[124:125], s[12:13], v[4:5]
	v_fmac_f64_e32 v[128:129], s[4:5], v[8:9]
	v_add_f64 v[122:123], v[122:123], v[126:127]
	v_fmac_f64_e32 v[124:125], s[10:11], v[8:9]
	v_fmac_f64_e32 v[128:129], s[8:9], v[122:123]
	;; [unrolled: 1-line block ×3, first 2 shown]
	v_add_f64 v[122:123], v[100:101], v[116:117]
	v_fmac_f64_e32 v[64:65], -0.5, v[122:123]
	v_fma_f64 v[132:133], s[12:13], v[8:9], v[64:65]
	v_fmac_f64_e32 v[64:65], s[2:3], v[8:9]
	v_fmac_f64_e32 v[132:133], s[4:5], v[4:5]
	;; [unrolled: 1-line block ×3, first 2 shown]
	v_add_f64 v[4:5], v[66:67], v[102:103]
	v_add_f64 v[122:123], v[104:105], -v[100:101]
	v_add_f64 v[126:127], v[108:109], -v[116:117]
	v_add_f64 v[4:5], v[4:5], v[106:107]
	v_add_f64 v[122:123], v[122:123], v[126:127]
	;; [unrolled: 1-line block ×3, first 2 shown]
	v_fmac_f64_e32 v[132:133], s[8:9], v[122:123]
	v_fmac_f64_e32 v[64:65], s[8:9], v[122:123]
	v_add_f64 v[122:123], v[4:5], v[118:119]
	v_add_f64 v[4:5], v[106:107], v[110:111]
	v_fma_f64 v[126:127], -0.5, v[4:5], v[66:67]
	v_add_f64 v[4:5], v[100:101], -v[116:117]
	v_fma_f64 v[130:131], s[12:13], v[4:5], v[126:127]
	v_add_f64 v[8:9], v[104:105], -v[108:109]
	v_add_f64 v[100:101], v[102:103], -v[106:107]
	v_add_f64 v[104:105], v[118:119], -v[110:111]
	v_fmac_f64_e32 v[126:127], s[2:3], v[4:5]
	v_fmac_f64_e32 v[130:131], s[10:11], v[8:9]
	v_add_f64 v[100:101], v[100:101], v[104:105]
	v_fmac_f64_e32 v[126:127], s[4:5], v[8:9]
	v_fmac_f64_e32 v[130:131], s[8:9], v[100:101]
	;; [unrolled: 1-line block ×3, first 2 shown]
	v_add_f64 v[100:101], v[102:103], v[118:119]
	v_fmac_f64_e32 v[66:67], -0.5, v[100:101]
	v_fma_f64 v[134:135], s[2:3], v[8:9], v[66:67]
	v_fmac_f64_e32 v[66:67], s[12:13], v[8:9]
	v_fmac_f64_e32 v[134:135], s[10:11], v[4:5]
	;; [unrolled: 1-line block ×3, first 2 shown]
	s_waitcnt lgkmcnt(3)
	v_add_f64 v[4:5], v[68:69], v[72:73]
	v_add_f64 v[100:101], v[106:107], -v[102:103]
	v_add_f64 v[102:103], v[110:111], -v[118:119]
	s_waitcnt lgkmcnt(2)
	v_add_f64 v[4:5], v[4:5], v[80:81]
	v_add_f64 v[100:101], v[100:101], v[102:103]
	s_waitcnt lgkmcnt(1)
	v_add_f64 v[4:5], v[4:5], v[88:89]
	v_fmac_f64_e32 v[134:135], s[8:9], v[100:101]
	v_fmac_f64_e32 v[66:67], s[8:9], v[100:101]
	s_waitcnt lgkmcnt(0)
	v_add_f64 v[100:101], v[4:5], v[96:97]
	v_add_f64 v[4:5], v[80:81], v[88:89]
	v_fma_f64 v[104:105], -0.5, v[4:5], v[68:69]
	v_add_f64 v[4:5], v[74:75], -v[98:99]
	v_fma_f64 v[108:109], s[2:3], v[4:5], v[104:105]
	v_add_f64 v[8:9], v[82:83], -v[90:91]
	v_add_f64 v[102:103], v[72:73], -v[80:81]
	v_add_f64 v[106:107], v[96:97], -v[88:89]
	v_fmac_f64_e32 v[104:105], s[12:13], v[4:5]
	v_fmac_f64_e32 v[108:109], s[4:5], v[8:9]
	v_add_f64 v[102:103], v[102:103], v[106:107]
	v_fmac_f64_e32 v[104:105], s[10:11], v[8:9]
	v_fmac_f64_e32 v[108:109], s[8:9], v[102:103]
	;; [unrolled: 1-line block ×3, first 2 shown]
	v_add_f64 v[102:103], v[72:73], v[96:97]
	v_fmac_f64_e32 v[68:69], -0.5, v[102:103]
	v_fma_f64 v[116:117], s[12:13], v[8:9], v[68:69]
	v_fmac_f64_e32 v[68:69], s[2:3], v[8:9]
	v_fmac_f64_e32 v[116:117], s[4:5], v[4:5]
	;; [unrolled: 1-line block ×3, first 2 shown]
	v_add_f64 v[4:5], v[70:71], v[74:75]
	v_add_f64 v[102:103], v[80:81], -v[72:73]
	v_add_f64 v[106:107], v[88:89], -v[96:97]
	v_add_f64 v[4:5], v[4:5], v[82:83]
	v_add_f64 v[102:103], v[102:103], v[106:107]
	;; [unrolled: 1-line block ×3, first 2 shown]
	v_fmac_f64_e32 v[116:117], s[8:9], v[102:103]
	v_fmac_f64_e32 v[68:69], s[8:9], v[102:103]
	v_add_f64 v[102:103], v[4:5], v[98:99]
	v_add_f64 v[4:5], v[82:83], v[90:91]
	v_fma_f64 v[106:107], -0.5, v[4:5], v[70:71]
	v_add_f64 v[4:5], v[72:73], -v[96:97]
	v_fma_f64 v[110:111], s[12:13], v[4:5], v[106:107]
	v_add_f64 v[8:9], v[80:81], -v[88:89]
	v_add_f64 v[72:73], v[74:75], -v[82:83]
	;; [unrolled: 1-line block ×3, first 2 shown]
	v_fmac_f64_e32 v[106:107], s[2:3], v[4:5]
	v_fmac_f64_e32 v[110:111], s[10:11], v[8:9]
	v_add_f64 v[72:73], v[72:73], v[80:81]
	v_fmac_f64_e32 v[106:107], s[4:5], v[8:9]
	v_fmac_f64_e32 v[110:111], s[8:9], v[72:73]
	;; [unrolled: 1-line block ×3, first 2 shown]
	v_add_f64 v[72:73], v[74:75], v[98:99]
	v_fmac_f64_e32 v[70:71], -0.5, v[72:73]
	v_fma_f64 v[118:119], s[2:3], v[8:9], v[70:71]
	v_fmac_f64_e32 v[70:71], s[12:13], v[8:9]
	v_fmac_f64_e32 v[118:119], s[10:11], v[4:5]
	;; [unrolled: 1-line block ×3, first 2 shown]
	v_mul_lo_u16_e32 v4, 5, v6
	v_lshl_add_u32 v5, v4, 4, v11
	v_mul_u32_u24_e32 v4, 5, v208
	v_lshl_add_u32 v7, v4, 4, v11
	v_mul_u32_u24_e32 v4, 5, v210
	v_lshl_add_u32 v8, v4, 4, v11
	v_mul_lo_u16_sdwa v4, v6, s14 dst_sel:DWORD dst_unused:UNUSED_PAD src0_sel:BYTE_0 src1_sel:DWORD
	v_lshrrev_b16_e32 v4, 10, v4
	v_mul_lo_u16_e32 v9, 5, v4
	v_sub_u16_e32 v9, v6, v9
	v_add_f64 v[72:73], v[82:83], -v[74:75]
	v_add_f64 v[74:75], v[90:91], -v[98:99]
	v_lshlrev_b16_e32 v10, 2, v9
	v_add_f64 v[72:73], v[72:73], v[74:75]
	v_and_b32_e32 v10, 0xfc, v10
	v_fmac_f64_e32 v[118:119], s[8:9], v[72:73]
	v_fmac_f64_e32 v[70:71], s[8:9], v[72:73]
	v_lshlrev_b32_e32 v10, 4, v10
	s_barrier
	ds_write_b128 v5, v[84:87]
	ds_write_b128 v5, v[92:95] offset:16
	ds_write_b128 v5, v[112:115] offset:32
	ds_write_b128 v5, v[60:63] offset:48
	ds_write_b128 v5, v[76:79] offset:64
	ds_write_b128 v7, v[120:123]
	ds_write_b128 v7, v[128:131] offset:16
	ds_write_b128 v7, v[132:135] offset:32
	ds_write_b128 v7, v[64:67] offset:48
	ds_write_b128 v7, v[124:127] offset:64
	;; [unrolled: 5-line block ×3, first 2 shown]
	s_waitcnt lgkmcnt(0)
	s_barrier
	ds_read_b128 v[116:119], v0
	ds_read_b128 v[76:79], v0 offset:1200
	ds_read_b128 v[80:83], v0 offset:2400
	;; [unrolled: 1-line block ×14, first 2 shown]
	global_load_dwordx4 v[60:63], v10, s[6:7] offset:48
	global_load_dwordx4 v[64:67], v10, s[6:7] offset:32
	;; [unrolled: 1-line block ×3, first 2 shown]
	global_load_dwordx4 v[72:75], v10, s[6:7]
	v_mul_lo_u16_sdwa v10, v208, s14 dst_sel:DWORD dst_unused:UNUSED_PAD src0_sel:BYTE_0 src1_sel:DWORD
	v_lshrrev_b16_e32 v10, 10, v10
	v_mad_legacy_u16 v4, v4, 25, v9
	v_mul_u32_u24_e32 v9, 25, v10
	v_and_b32_e32 v4, 0xff, v4
	v_lshl_add_u32 v4, v4, 4, v11
	s_waitcnt vmcnt(3) lgkmcnt(10)
	v_mul_f64 v[142:143], v[88:89], v[62:63]
	s_waitcnt vmcnt(2)
	v_mul_f64 v[140:141], v[84:85], v[66:67]
	s_waitcnt vmcnt(1)
	;; [unrolled: 2-line block ×3, first 2 shown]
	v_mul_f64 v[136:137], v[78:79], v[74:75]
	v_fma_f64 v[146:147], v[76:77], v[72:73], -v[136:137]
	v_mul_f64 v[136:137], v[76:77], v[74:75]
	v_mul_f64 v[76:77], v[82:83], v[70:71]
	v_fma_f64 v[152:153], v[80:81], v[68:69], -v[76:77]
	v_mul_f64 v[76:77], v[86:87], v[66:67]
	v_fma_f64 v[154:155], v[84:85], v[64:65], -v[76:77]
	;; [unrolled: 2-line block ×3, first 2 shown]
	v_mul_lo_u16_e32 v76, 5, v10
	v_sub_u16_e32 v182, v208, v76
	v_lshlrev_b32_sdwa v88, v148, v182 dst_sel:DWORD dst_unused:UNUSED_PAD src0_sel:DWORD src1_sel:BYTE_0
	v_fmac_f64_e32 v[136:137], v[78:79], v[72:73]
	v_fmac_f64_e32 v[138:139], v[82:83], v[68:69]
	;; [unrolled: 1-line block ×4, first 2 shown]
	global_load_dwordx4 v[76:79], v88, s[6:7] offset:48
	global_load_dwordx4 v[80:83], v88, s[6:7] offset:32
	;; [unrolled: 1-line block ×3, first 2 shown]
	s_nop 0
	global_load_dwordx4 v[88:91], v88, s[6:7]
	v_add_u32_sdwa v9, v9, v182 dst_sel:DWORD dst_unused:UNUSED_PAD src0_sel:DWORD src1_sel:BYTE_0
	v_lshl_add_u32 v9, v9, 4, v11
	s_waitcnt vmcnt(3) lgkmcnt(5)
	v_mul_f64 v[174:175], v[92:93], v[78:79]
	s_waitcnt vmcnt(2)
	v_mul_f64 v[172:173], v[96:97], v[82:83]
	s_waitcnt vmcnt(1)
	;; [unrolled: 2-line block ×3, first 2 shown]
	v_mul_f64 v[144:145], v[106:107], v[90:91]
	v_fma_f64 v[158:159], v[104:105], v[88:89], -v[144:145]
	v_mul_f64 v[168:169], v[104:105], v[90:91]
	v_mul_f64 v[104:105], v[102:103], v[86:87]
	v_fma_f64 v[176:177], v[100:101], v[84:85], -v[104:105]
	v_mul_f64 v[100:101], v[98:99], v[82:83]
	v_fma_f64 v[178:179], v[96:97], v[80:81], -v[100:101]
	;; [unrolled: 2-line block ×3, first 2 shown]
	v_mul_lo_u16_sdwa v92, v210, s14 dst_sel:DWORD dst_unused:UNUSED_PAD src0_sel:BYTE_0 src1_sel:DWORD
	v_lshrrev_b16_e32 v183, 10, v92
	v_mul_lo_u16_e32 v92, 5, v183
	v_sub_u16_e32 v184, v210, v92
	v_lshlrev_b32_sdwa v104, v148, v184 dst_sel:DWORD dst_unused:UNUSED_PAD src0_sel:DWORD src1_sel:BYTE_0
	v_fmac_f64_e32 v[168:169], v[106:107], v[88:89]
	v_fmac_f64_e32 v[170:171], v[102:103], v[84:85]
	;; [unrolled: 1-line block ×4, first 2 shown]
	global_load_dwordx4 v[92:95], v104, s[6:7] offset:48
	global_load_dwordx4 v[96:99], v104, s[6:7] offset:32
	;; [unrolled: 1-line block ×3, first 2 shown]
	s_nop 0
	global_load_dwordx4 v[104:107], v104, s[6:7]
	v_mul_u32_u24_e32 v10, 25, v183
	v_add_u32_sdwa v10, v10, v184 dst_sel:DWORD dst_unused:UNUSED_PAD src0_sel:DWORD src1_sel:BYTE_0
	s_waitcnt lgkmcnt(0)
	s_barrier
	v_lshl_add_u32 v10, v10, 4, v11
	s_waitcnt vmcnt(3)
	v_mul_f64 v[198:199], v[120:121], v[94:95]
	s_waitcnt vmcnt(2)
	v_mul_f64 v[196:197], v[124:125], v[98:99]
	s_waitcnt vmcnt(1)
	v_mul_f64 v[192:193], v[128:129], v[102:103]
	s_waitcnt vmcnt(0)
	v_mul_f64 v[144:145], v[134:135], v[106:107]
	v_fma_f64 v[186:187], v[132:133], v[104:105], -v[144:145]
	v_mul_f64 v[188:189], v[132:133], v[106:107]
	v_mul_f64 v[132:133], v[130:131], v[102:103]
	v_fma_f64 v[190:191], v[128:129], v[100:101], -v[132:133]
	v_mul_f64 v[128:129], v[126:127], v[98:99]
	v_fma_f64 v[194:195], v[124:125], v[96:97], -v[128:129]
	v_mul_f64 v[124:125], v[122:123], v[94:95]
	v_fmac_f64_e32 v[188:189], v[134:135], v[104:105]
	v_fma_f64 v[134:135], v[120:121], v[92:93], -v[124:125]
	v_add_f64 v[120:121], v[116:117], v[146:147]
	v_add_f64 v[120:121], v[120:121], v[152:153]
	;; [unrolled: 1-line block ×5, first 2 shown]
	v_fma_f64 v[128:129], -0.5, v[120:121], v[116:117]
	v_add_f64 v[120:121], v[136:137], -v[142:143]
	v_fmac_f64_e32 v[196:197], v[126:127], v[96:97]
	v_fmac_f64_e32 v[198:199], v[122:123], v[92:93]
	v_fma_f64 v[148:149], s[2:3], v[120:121], v[128:129]
	v_add_f64 v[122:123], v[138:139], -v[140:141]
	v_add_f64 v[124:125], v[146:147], -v[152:153]
	;; [unrolled: 1-line block ×3, first 2 shown]
	v_fmac_f64_e32 v[128:129], s[12:13], v[120:121]
	v_fmac_f64_e32 v[148:149], s[4:5], v[122:123]
	v_add_f64 v[124:125], v[124:125], v[126:127]
	v_fmac_f64_e32 v[128:129], s[10:11], v[122:123]
	v_fmac_f64_e32 v[148:149], s[8:9], v[124:125]
	;; [unrolled: 1-line block ×3, first 2 shown]
	v_add_f64 v[124:125], v[146:147], v[150:151]
	v_fmac_f64_e32 v[116:117], -0.5, v[124:125]
	v_fma_f64 v[144:145], s[12:13], v[122:123], v[116:117]
	v_fmac_f64_e32 v[116:117], s[2:3], v[122:123]
	v_fmac_f64_e32 v[144:145], s[4:5], v[120:121]
	;; [unrolled: 1-line block ×3, first 2 shown]
	v_add_f64 v[120:121], v[118:119], v[136:137]
	v_add_f64 v[120:121], v[120:121], v[138:139]
	;; [unrolled: 1-line block ×3, first 2 shown]
	v_add_f64 v[124:125], v[152:153], -v[146:147]
	v_add_f64 v[126:127], v[154:155], -v[150:151]
	v_add_f64 v[162:163], v[120:121], v[142:143]
	v_add_f64 v[120:121], v[138:139], v[140:141]
	v_fmac_f64_e32 v[192:193], v[130:131], v[100:101]
	v_add_f64 v[124:125], v[124:125], v[126:127]
	v_fma_f64 v[130:131], -0.5, v[120:121], v[118:119]
	v_add_f64 v[120:121], v[146:147], -v[150:151]
	v_fmac_f64_e32 v[144:145], s[8:9], v[124:125]
	v_fmac_f64_e32 v[116:117], s[8:9], v[124:125]
	v_fma_f64 v[150:151], s[12:13], v[120:121], v[130:131]
	v_add_f64 v[122:123], v[152:153], -v[154:155]
	v_add_f64 v[124:125], v[136:137], -v[138:139]
	;; [unrolled: 1-line block ×3, first 2 shown]
	v_fmac_f64_e32 v[130:131], s[2:3], v[120:121]
	v_fmac_f64_e32 v[150:151], s[10:11], v[122:123]
	v_add_f64 v[124:125], v[124:125], v[126:127]
	v_fmac_f64_e32 v[130:131], s[4:5], v[122:123]
	v_fmac_f64_e32 v[150:151], s[8:9], v[124:125]
	;; [unrolled: 1-line block ×3, first 2 shown]
	v_add_f64 v[124:125], v[136:137], v[142:143]
	v_fmac_f64_e32 v[118:119], -0.5, v[124:125]
	v_fma_f64 v[146:147], s[2:3], v[122:123], v[118:119]
	v_fmac_f64_e32 v[118:119], s[12:13], v[122:123]
	v_fmac_f64_e32 v[146:147], s[10:11], v[120:121]
	v_fmac_f64_e32 v[118:119], s[4:5], v[120:121]
	v_add_f64 v[120:121], v[112:113], v[158:159]
	v_add_f64 v[120:121], v[120:121], v[176:177]
	;; [unrolled: 1-line block ×3, first 2 shown]
	v_add_f64 v[124:125], v[138:139], -v[136:137]
	v_add_f64 v[126:127], v[140:141], -v[142:143]
	v_add_f64 v[164:165], v[120:121], v[180:181]
	v_add_f64 v[120:121], v[176:177], v[178:179]
	;; [unrolled: 1-line block ×3, first 2 shown]
	v_fma_f64 v[120:121], -0.5, v[120:121], v[112:113]
	v_add_f64 v[122:123], v[168:169], -v[174:175]
	v_fmac_f64_e32 v[146:147], s[8:9], v[124:125]
	v_fmac_f64_e32 v[118:119], s[8:9], v[124:125]
	v_fma_f64 v[156:157], s[2:3], v[122:123], v[120:121]
	v_add_f64 v[124:125], v[170:171], -v[172:173]
	v_add_f64 v[126:127], v[158:159], -v[176:177]
	;; [unrolled: 1-line block ×3, first 2 shown]
	v_fmac_f64_e32 v[120:121], s[12:13], v[122:123]
	v_fmac_f64_e32 v[156:157], s[4:5], v[124:125]
	v_add_f64 v[126:127], v[126:127], v[132:133]
	v_fmac_f64_e32 v[120:121], s[10:11], v[124:125]
	v_fmac_f64_e32 v[156:157], s[8:9], v[126:127]
	;; [unrolled: 1-line block ×3, first 2 shown]
	v_add_f64 v[126:127], v[158:159], v[180:181]
	v_fmac_f64_e32 v[112:113], -0.5, v[126:127]
	v_fma_f64 v[152:153], s[12:13], v[124:125], v[112:113]
	v_fmac_f64_e32 v[112:113], s[2:3], v[124:125]
	v_fmac_f64_e32 v[152:153], s[4:5], v[122:123]
	;; [unrolled: 1-line block ×3, first 2 shown]
	v_add_f64 v[122:123], v[114:115], v[168:169]
	v_add_f64 v[122:123], v[122:123], v[170:171]
	;; [unrolled: 1-line block ×3, first 2 shown]
	v_add_f64 v[126:127], v[176:177], -v[158:159]
	v_add_f64 v[132:133], v[178:179], -v[180:181]
	v_add_f64 v[166:167], v[122:123], v[174:175]
	v_add_f64 v[122:123], v[170:171], v[172:173]
	;; [unrolled: 1-line block ×3, first 2 shown]
	v_fma_f64 v[122:123], -0.5, v[122:123], v[114:115]
	v_add_f64 v[124:125], v[158:159], -v[180:181]
	v_fmac_f64_e32 v[152:153], s[8:9], v[126:127]
	v_fmac_f64_e32 v[112:113], s[8:9], v[126:127]
	v_fma_f64 v[158:159], s[12:13], v[124:125], v[122:123]
	v_add_f64 v[126:127], v[176:177], -v[178:179]
	v_add_f64 v[132:133], v[168:169], -v[170:171]
	;; [unrolled: 1-line block ×3, first 2 shown]
	v_fmac_f64_e32 v[122:123], s[2:3], v[124:125]
	v_fmac_f64_e32 v[158:159], s[10:11], v[126:127]
	v_add_f64 v[132:133], v[132:133], v[136:137]
	v_fmac_f64_e32 v[122:123], s[4:5], v[126:127]
	v_fmac_f64_e32 v[158:159], s[8:9], v[132:133]
	;; [unrolled: 1-line block ×3, first 2 shown]
	v_add_f64 v[132:133], v[168:169], v[174:175]
	v_fmac_f64_e32 v[114:115], -0.5, v[132:133]
	v_fma_f64 v[154:155], s[2:3], v[126:127], v[114:115]
	v_fmac_f64_e32 v[114:115], s[12:13], v[126:127]
	v_fmac_f64_e32 v[154:155], s[10:11], v[124:125]
	;; [unrolled: 1-line block ×3, first 2 shown]
	v_add_f64 v[124:125], v[108:109], v[186:187]
	v_add_f64 v[124:125], v[124:125], v[190:191]
	v_add_f64 v[132:133], v[170:171], -v[168:169]
	v_add_f64 v[136:137], v[172:173], -v[174:175]
	v_add_f64 v[124:125], v[124:125], v[194:195]
	v_add_f64 v[132:133], v[132:133], v[136:137]
	v_add_f64 v[136:137], v[124:125], v[134:135]
	v_add_f64 v[124:125], v[190:191], v[194:195]
	v_fma_f64 v[124:125], -0.5, v[124:125], v[108:109]
	v_add_f64 v[126:127], v[188:189], -v[198:199]
	v_fmac_f64_e32 v[154:155], s[8:9], v[132:133]
	v_fmac_f64_e32 v[114:115], s[8:9], v[132:133]
	v_fma_f64 v[132:133], s[2:3], v[126:127], v[124:125]
	v_add_f64 v[138:139], v[192:193], -v[196:197]
	v_add_f64 v[140:141], v[186:187], -v[190:191]
	;; [unrolled: 1-line block ×3, first 2 shown]
	v_fmac_f64_e32 v[124:125], s[12:13], v[126:127]
	v_fmac_f64_e32 v[132:133], s[4:5], v[138:139]
	v_add_f64 v[140:141], v[140:141], v[142:143]
	v_fmac_f64_e32 v[124:125], s[10:11], v[138:139]
	v_fmac_f64_e32 v[132:133], s[8:9], v[140:141]
	;; [unrolled: 1-line block ×3, first 2 shown]
	v_add_f64 v[140:141], v[186:187], v[134:135]
	v_fmac_f64_e32 v[108:109], -0.5, v[140:141]
	v_fma_f64 v[140:141], s[12:13], v[138:139], v[108:109]
	v_fmac_f64_e32 v[108:109], s[2:3], v[138:139]
	v_fmac_f64_e32 v[140:141], s[4:5], v[126:127]
	;; [unrolled: 1-line block ×3, first 2 shown]
	v_add_f64 v[126:127], v[110:111], v[188:189]
	v_add_f64 v[126:127], v[126:127], v[192:193]
	;; [unrolled: 1-line block ×3, first 2 shown]
	v_add_f64 v[142:143], v[190:191], -v[186:187]
	v_add_f64 v[168:169], v[194:195], -v[134:135]
	v_add_f64 v[138:139], v[126:127], v[198:199]
	v_add_f64 v[126:127], v[192:193], v[196:197]
	v_add_f64 v[142:143], v[142:143], v[168:169]
	v_fma_f64 v[126:127], -0.5, v[126:127], v[110:111]
	v_add_f64 v[168:169], v[186:187], -v[134:135]
	v_fmac_f64_e32 v[140:141], s[8:9], v[142:143]
	v_fmac_f64_e32 v[108:109], s[8:9], v[142:143]
	v_fma_f64 v[134:135], s[12:13], v[168:169], v[126:127]
	v_add_f64 v[170:171], v[190:191], -v[194:195]
	v_add_f64 v[142:143], v[188:189], -v[192:193]
	v_add_f64 v[172:173], v[198:199], -v[196:197]
	v_fmac_f64_e32 v[126:127], s[2:3], v[168:169]
	v_fmac_f64_e32 v[134:135], s[10:11], v[170:171]
	v_add_f64 v[142:143], v[142:143], v[172:173]
	v_fmac_f64_e32 v[126:127], s[4:5], v[170:171]
	v_fmac_f64_e32 v[134:135], s[8:9], v[142:143]
	;; [unrolled: 1-line block ×3, first 2 shown]
	v_add_f64 v[142:143], v[188:189], v[198:199]
	v_fmac_f64_e32 v[110:111], -0.5, v[142:143]
	v_fma_f64 v[142:143], s[2:3], v[170:171], v[110:111]
	v_add_f64 v[172:173], v[192:193], -v[188:189]
	v_add_f64 v[174:175], v[196:197], -v[198:199]
	v_fmac_f64_e32 v[110:111], s[12:13], v[170:171]
	v_fmac_f64_e32 v[142:143], s[10:11], v[168:169]
	v_add_f64 v[172:173], v[172:173], v[174:175]
	v_fmac_f64_e32 v[110:111], s[4:5], v[168:169]
	v_fmac_f64_e32 v[142:143], s[8:9], v[172:173]
	;; [unrolled: 1-line block ×3, first 2 shown]
	ds_write_b128 v4, v[160:163]
	ds_write_b128 v4, v[148:151] offset:80
	ds_write_b128 v4, v[144:147] offset:160
	;; [unrolled: 1-line block ×4, first 2 shown]
	ds_write_b128 v9, v[164:167]
	ds_write_b128 v9, v[156:159] offset:80
	ds_write_b128 v9, v[152:155] offset:160
	;; [unrolled: 1-line block ×4, first 2 shown]
	v_lshlrev_b32_e32 v120, 6, v6
	ds_write_b128 v10, v[136:139]
	ds_write_b128 v10, v[132:135] offset:80
	ds_write_b128 v10, v[140:143] offset:160
	;; [unrolled: 1-line block ×4, first 2 shown]
	s_waitcnt lgkmcnt(0)
	s_barrier
	ds_read_b128 v[148:151], v0
	ds_read_b128 v[124:127], v0 offset:1200
	ds_read_b128 v[128:131], v0 offset:2400
	;; [unrolled: 1-line block ×14, first 2 shown]
	global_load_dwordx4 v[108:111], v120, s[6:7] offset:368
	global_load_dwordx4 v[112:115], v120, s[6:7] offset:352
	;; [unrolled: 1-line block ×3, first 2 shown]
	s_nop 0
	global_load_dwordx4 v[120:123], v120, s[6:7] offset:320
	s_waitcnt vmcnt(3) lgkmcnt(10)
	v_mul_f64 v[198:199], v[136:137], v[110:111]
	s_waitcnt vmcnt(2)
	v_mul_f64 v[196:197], v[132:133], v[114:115]
	s_waitcnt vmcnt(1)
	;; [unrolled: 2-line block ×3, first 2 shown]
	v_mul_f64 v[168:169], v[126:127], v[122:123]
	v_fma_f64 v[170:171], v[124:125], v[120:121], -v[168:169]
	v_mul_f64 v[184:185], v[124:125], v[122:123]
	v_mul_f64 v[124:125], v[130:131], v[118:119]
	v_fma_f64 v[200:201], v[128:129], v[116:117], -v[124:125]
	v_mul_f64 v[124:125], v[134:135], v[114:115]
	v_fma_f64 v[202:203], v[132:133], v[112:113], -v[124:125]
	;; [unrolled: 2-line block ×3, first 2 shown]
	s_waitcnt lgkmcnt(8)
	v_mul_f64 v[124:125], v[174:175], v[122:123]
	v_fma_f64 v[186:187], v[172:173], v[120:121], -v[124:125]
	s_waitcnt lgkmcnt(7)
	v_mul_f64 v[124:125], v[178:179], v[118:119]
	v_fma_f64 v[192:193], v[176:177], v[116:117], -v[124:125]
	;; [unrolled: 3-line block ×4, first 2 shown]
	v_mov_b32_e32 v124, 41
	v_mul_lo_u16_sdwa v124, v210, v124 dst_sel:DWORD dst_unused:UNUSED_PAD src0_sel:BYTE_0 src1_sel:DWORD
	v_lshrrev_b16_e32 v124, 10, v124
	v_mul_lo_u16_e32 v124, 25, v124
	v_sub_u16_e32 v124, v210, v124
	v_and_b32_e32 v209, 0xff, v124
	v_lshlrev_b32_e32 v136, 6, v209
	v_fmac_f64_e32 v[184:185], v[126:127], v[120:121]
	v_fmac_f64_e32 v[188:189], v[130:131], v[116:117]
	;; [unrolled: 1-line block ×4, first 2 shown]
	global_load_dwordx4 v[124:127], v136, s[6:7] offset:368
	global_load_dwordx4 v[128:131], v136, s[6:7] offset:352
	;; [unrolled: 1-line block ×3, first 2 shown]
	s_nop 0
	global_load_dwordx4 v[136:139], v136, s[6:7] offset:320
	v_mul_f64 v[172:173], v[172:173], v[122:123]
	v_fmac_f64_e32 v[172:173], v[174:175], v[120:121]
	v_mul_f64 v[174:175], v[176:177], v[118:119]
	v_fmac_f64_e32 v[174:175], v[178:179], v[116:117]
	;; [unrolled: 2-line block ×4, first 2 shown]
	v_lshl_add_u32 v11, v209, 4, v11
	s_waitcnt lgkmcnt(0)
	s_barrier
	s_waitcnt vmcnt(3)
	v_mul_f64 v[226:227], v[152:153], v[126:127]
	s_waitcnt vmcnt(2)
	v_mul_f64 v[220:221], v[156:157], v[130:131]
	;; [unrolled: 2-line block ×4, first 2 shown]
	v_fma_f64 v[212:213], v[164:165], v[136:137], -v[168:169]
	v_mul_f64 v[206:207], v[164:165], v[138:139]
	v_mul_f64 v[164:165], v[162:163], v[134:135]
	v_fma_f64 v[214:215], v[160:161], v[132:133], -v[164:165]
	v_mul_f64 v[160:161], v[158:159], v[130:131]
	v_fma_f64 v[218:219], v[156:157], v[128:129], -v[160:161]
	;; [unrolled: 2-line block ×3, first 2 shown]
	v_add_f64 v[152:153], v[148:149], v[170:171]
	v_add_f64 v[152:153], v[152:153], v[200:201]
	;; [unrolled: 1-line block ×5, first 2 shown]
	v_fmac_f64_e32 v[226:227], v[154:155], v[124:125]
	v_fma_f64 v[152:153], -0.5, v[152:153], v[148:149]
	v_add_f64 v[154:155], v[184:185], -v[198:199]
	v_fmac_f64_e32 v[220:221], v[158:159], v[128:129]
	v_fma_f64 v[168:169], s[2:3], v[154:155], v[152:153]
	v_add_f64 v[156:157], v[188:189], -v[196:197]
	v_add_f64 v[158:159], v[170:171], -v[200:201]
	;; [unrolled: 1-line block ×3, first 2 shown]
	v_fmac_f64_e32 v[152:153], s[12:13], v[154:155]
	v_fmac_f64_e32 v[168:169], s[4:5], v[156:157]
	v_add_f64 v[158:159], v[158:159], v[160:161]
	v_fmac_f64_e32 v[152:153], s[10:11], v[156:157]
	v_fmac_f64_e32 v[168:169], s[8:9], v[158:159]
	;; [unrolled: 1-line block ×3, first 2 shown]
	v_add_f64 v[158:159], v[170:171], v[204:205]
	v_fmac_f64_e32 v[148:149], -0.5, v[158:159]
	v_fma_f64 v[164:165], s[12:13], v[156:157], v[148:149]
	v_fmac_f64_e32 v[148:149], s[2:3], v[156:157]
	v_fmac_f64_e32 v[164:165], s[4:5], v[154:155]
	;; [unrolled: 1-line block ×3, first 2 shown]
	v_add_f64 v[154:155], v[150:151], v[184:185]
	v_add_f64 v[154:155], v[154:155], v[188:189]
	;; [unrolled: 1-line block ×3, first 2 shown]
	v_add_f64 v[158:159], v[200:201], -v[170:171]
	v_add_f64 v[160:161], v[202:203], -v[204:205]
	v_add_f64 v[182:183], v[154:155], v[198:199]
	v_add_f64 v[154:155], v[188:189], v[196:197]
	;; [unrolled: 1-line block ×3, first 2 shown]
	v_fma_f64 v[154:155], -0.5, v[154:155], v[150:151]
	v_add_f64 v[156:157], v[170:171], -v[204:205]
	v_fmac_f64_e32 v[216:217], v[162:163], v[132:133]
	v_fmac_f64_e32 v[164:165], s[8:9], v[158:159]
	;; [unrolled: 1-line block ×3, first 2 shown]
	v_fma_f64 v[170:171], s[12:13], v[156:157], v[154:155]
	v_add_f64 v[158:159], v[200:201], -v[202:203]
	v_add_f64 v[160:161], v[184:185], -v[188:189]
	;; [unrolled: 1-line block ×3, first 2 shown]
	v_fmac_f64_e32 v[154:155], s[2:3], v[156:157]
	v_fmac_f64_e32 v[170:171], s[10:11], v[158:159]
	v_add_f64 v[160:161], v[160:161], v[162:163]
	v_fmac_f64_e32 v[154:155], s[4:5], v[158:159]
	v_fmac_f64_e32 v[170:171], s[8:9], v[160:161]
	;; [unrolled: 1-line block ×3, first 2 shown]
	v_add_f64 v[160:161], v[184:185], v[198:199]
	v_fmac_f64_e32 v[150:151], -0.5, v[160:161]
	v_fmac_f64_e32 v[206:207], v[166:167], v[136:137]
	v_fma_f64 v[166:167], s[2:3], v[158:159], v[150:151]
	v_fmac_f64_e32 v[150:151], s[12:13], v[158:159]
	v_fmac_f64_e32 v[166:167], s[10:11], v[156:157]
	;; [unrolled: 1-line block ×3, first 2 shown]
	v_add_f64 v[156:157], v[144:145], v[186:187]
	v_add_f64 v[156:157], v[156:157], v[192:193]
	v_add_f64 v[160:161], v[188:189], -v[184:185]
	v_add_f64 v[162:163], v[196:197], -v[198:199]
	v_add_f64 v[156:157], v[156:157], v[194:195]
	v_add_f64 v[160:161], v[160:161], v[162:163]
	;; [unrolled: 1-line block ×4, first 2 shown]
	v_fmac_f64_e32 v[166:167], s[8:9], v[160:161]
	v_fmac_f64_e32 v[150:151], s[8:9], v[160:161]
	v_fma_f64 v[160:161], -0.5, v[156:157], v[144:145]
	v_add_f64 v[156:157], v[172:173], -v[178:179]
	v_fma_f64 v[188:189], s[2:3], v[156:157], v[160:161]
	v_add_f64 v[158:159], v[174:175], -v[176:177]
	v_add_f64 v[162:163], v[186:187], -v[192:193]
	;; [unrolled: 1-line block ×3, first 2 shown]
	v_fmac_f64_e32 v[160:161], s[12:13], v[156:157]
	v_fmac_f64_e32 v[188:189], s[4:5], v[158:159]
	v_add_f64 v[162:163], v[162:163], v[184:185]
	v_fmac_f64_e32 v[160:161], s[10:11], v[158:159]
	v_fmac_f64_e32 v[188:189], s[8:9], v[162:163]
	v_fmac_f64_e32 v[160:161], s[8:9], v[162:163]
	v_add_f64 v[162:163], v[186:187], v[190:191]
	v_fmac_f64_e32 v[144:145], -0.5, v[162:163]
	v_fma_f64 v[184:185], s[12:13], v[158:159], v[144:145]
	v_fmac_f64_e32 v[144:145], s[2:3], v[158:159]
	v_fmac_f64_e32 v[184:185], s[4:5], v[156:157]
	v_fmac_f64_e32 v[144:145], s[10:11], v[156:157]
	v_add_f64 v[156:157], v[146:147], v[172:173]
	v_add_f64 v[156:157], v[156:157], v[174:175]
	v_add_f64 v[162:163], v[192:193], -v[186:187]
	v_add_f64 v[198:199], v[194:195], -v[190:191]
	v_add_f64 v[156:157], v[156:157], v[176:177]
	v_add_f64 v[162:163], v[162:163], v[198:199]
	;; [unrolled: 1-line block ×4, first 2 shown]
	v_fmac_f64_e32 v[184:185], s[8:9], v[162:163]
	v_fmac_f64_e32 v[144:145], s[8:9], v[162:163]
	v_fma_f64 v[162:163], -0.5, v[156:157], v[146:147]
	v_add_f64 v[156:157], v[186:187], -v[190:191]
	v_fma_f64 v[190:191], s[12:13], v[156:157], v[162:163]
	v_add_f64 v[158:159], v[192:193], -v[194:195]
	v_add_f64 v[186:187], v[172:173], -v[174:175]
	;; [unrolled: 1-line block ×3, first 2 shown]
	v_fmac_f64_e32 v[162:163], s[2:3], v[156:157]
	v_fmac_f64_e32 v[190:191], s[10:11], v[158:159]
	v_add_f64 v[186:187], v[186:187], v[192:193]
	v_fmac_f64_e32 v[162:163], s[4:5], v[158:159]
	v_fmac_f64_e32 v[190:191], s[8:9], v[186:187]
	;; [unrolled: 1-line block ×3, first 2 shown]
	v_add_f64 v[186:187], v[172:173], v[178:179]
	v_fmac_f64_e32 v[146:147], -0.5, v[186:187]
	v_fma_f64 v[186:187], s[2:3], v[158:159], v[146:147]
	v_fmac_f64_e32 v[146:147], s[12:13], v[158:159]
	v_fmac_f64_e32 v[186:187], s[10:11], v[156:157]
	;; [unrolled: 1-line block ×3, first 2 shown]
	v_add_f64 v[156:157], v[140:141], v[212:213]
	v_add_f64 v[156:157], v[156:157], v[214:215]
	;; [unrolled: 1-line block ×3, first 2 shown]
	v_add_f64 v[172:173], v[174:175], -v[172:173]
	v_add_f64 v[174:175], v[176:177], -v[178:179]
	v_add_f64 v[192:193], v[156:157], v[222:223]
	v_add_f64 v[156:157], v[214:215], v[218:219]
	;; [unrolled: 1-line block ×3, first 2 shown]
	v_fma_f64 v[156:157], -0.5, v[156:157], v[140:141]
	v_add_f64 v[158:159], v[206:207], -v[226:227]
	v_fmac_f64_e32 v[186:187], s[8:9], v[172:173]
	v_fmac_f64_e32 v[146:147], s[8:9], v[172:173]
	v_fma_f64 v[176:177], s[2:3], v[158:159], v[156:157]
	v_add_f64 v[174:175], v[216:217], -v[220:221]
	v_add_f64 v[172:173], v[212:213], -v[214:215]
	;; [unrolled: 1-line block ×3, first 2 shown]
	v_fmac_f64_e32 v[156:157], s[12:13], v[158:159]
	v_fmac_f64_e32 v[176:177], s[4:5], v[174:175]
	v_add_f64 v[172:173], v[172:173], v[178:179]
	v_fmac_f64_e32 v[156:157], s[10:11], v[174:175]
	v_fmac_f64_e32 v[176:177], s[8:9], v[172:173]
	;; [unrolled: 1-line block ×3, first 2 shown]
	v_add_f64 v[172:173], v[212:213], v[222:223]
	v_fmac_f64_e32 v[140:141], -0.5, v[172:173]
	v_fma_f64 v[172:173], s[12:13], v[174:175], v[140:141]
	v_fmac_f64_e32 v[140:141], s[2:3], v[174:175]
	v_fmac_f64_e32 v[172:173], s[4:5], v[158:159]
	;; [unrolled: 1-line block ×3, first 2 shown]
	v_add_f64 v[158:159], v[142:143], v[206:207]
	v_add_f64 v[158:159], v[158:159], v[216:217]
	v_add_f64 v[178:179], v[214:215], -v[212:213]
	v_add_f64 v[194:195], v[218:219], -v[222:223]
	v_add_f64 v[158:159], v[158:159], v[220:221]
	v_add_f64 v[178:179], v[178:179], v[194:195]
	;; [unrolled: 1-line block ×4, first 2 shown]
	v_fma_f64 v[158:159], -0.5, v[158:159], v[142:143]
	v_add_f64 v[200:201], v[212:213], -v[222:223]
	v_fmac_f64_e32 v[172:173], s[8:9], v[178:179]
	v_fmac_f64_e32 v[140:141], s[8:9], v[178:179]
	v_fma_f64 v[178:179], s[12:13], v[200:201], v[158:159]
	v_add_f64 v[202:203], v[214:215], -v[218:219]
	v_add_f64 v[174:175], v[206:207], -v[216:217]
	;; [unrolled: 1-line block ×3, first 2 shown]
	v_fmac_f64_e32 v[158:159], s[2:3], v[200:201]
	v_fmac_f64_e32 v[178:179], s[10:11], v[202:203]
	v_add_f64 v[174:175], v[174:175], v[204:205]
	v_fmac_f64_e32 v[158:159], s[4:5], v[202:203]
	v_fmac_f64_e32 v[178:179], s[8:9], v[174:175]
	;; [unrolled: 1-line block ×3, first 2 shown]
	v_add_f64 v[174:175], v[206:207], v[226:227]
	v_fmac_f64_e32 v[142:143], -0.5, v[174:175]
	v_fma_f64 v[174:175], s[2:3], v[202:203], v[142:143]
	v_add_f64 v[204:205], v[216:217], -v[206:207]
	v_add_f64 v[206:207], v[220:221], -v[226:227]
	v_fmac_f64_e32 v[142:143], s[12:13], v[202:203]
	v_fmac_f64_e32 v[174:175], s[10:11], v[200:201]
	v_add_f64 v[204:205], v[204:205], v[206:207]
	v_fmac_f64_e32 v[142:143], s[4:5], v[200:201]
	v_fmac_f64_e32 v[174:175], s[8:9], v[204:205]
	;; [unrolled: 1-line block ×3, first 2 shown]
	ds_write_b128 v0, v[180:183]
	ds_write_b128 v0, v[168:171] offset:400
	ds_write_b128 v0, v[164:167] offset:800
	;; [unrolled: 1-line block ×14, first 2 shown]
	s_waitcnt lgkmcnt(0)
	s_barrier
	ds_read_b128 v[196:199], v0
	ds_read_b128 v[148:151], v0 offset:2000
	ds_read_b128 v[152:155], v0 offset:4000
	;; [unrolled: 1-line block ×14, first 2 shown]
	global_load_dwordx4 v[140:143], v224, s[6:7] offset:1936
	global_load_dwordx4 v[144:147], v224, s[6:7] offset:1920
	s_waitcnt vmcnt(1) lgkmcnt(12)
	v_mul_f64 v[218:219], v[152:153], v[142:143]
	s_waitcnt vmcnt(0)
	v_mul_f64 v[212:213], v[150:151], v[146:147]
	v_fma_f64 v[230:231], v[148:149], v[144:145], -v[212:213]
	v_mul_f64 v[214:215], v[148:149], v[146:147]
	v_mul_f64 v[148:149], v[154:155], v[142:143]
	v_fma_f64 v[216:217], v[152:153], v[140:141], -v[148:149]
	v_lshlrev_b32_e32 v152, 5, v208
	v_fmac_f64_e32 v[214:215], v[150:151], v[144:145]
	v_fmac_f64_e32 v[218:219], v[154:155], v[140:141]
	global_load_dwordx4 v[148:151], v152, s[6:7] offset:1936
	s_nop 0
	global_load_dwordx4 v[152:155], v152, s[6:7] offset:1920
	s_waitcnt vmcnt(1) lgkmcnt(9)
	v_mul_f64 v[226:227], v[160:161], v[150:151]
	s_waitcnt vmcnt(0)
	v_mul_f64 v[208:209], v[158:159], v[154:155]
	v_fma_f64 v[208:209], v[156:157], v[152:153], -v[208:209]
	v_mul_f64 v[220:221], v[156:157], v[154:155]
	v_mul_f64 v[156:157], v[162:163], v[150:151]
	v_fma_f64 v[222:223], v[160:161], v[148:149], -v[156:157]
	v_lshlrev_b32_e32 v160, 5, v210
	v_fmac_f64_e32 v[220:221], v[158:159], v[152:153]
	v_fmac_f64_e32 v[226:227], v[162:163], v[148:149]
	global_load_dwordx4 v[156:159], v160, s[6:7] offset:1936
	s_nop 0
	global_load_dwordx4 v[160:163], v160, s[6:7] offset:1920
	s_waitcnt vmcnt(1) lgkmcnt(6)
	v_mul_f64 v[246:247], v[164:165], v[158:159]
	s_waitcnt vmcnt(0)
	v_mul_f64 v[210:211], v[170:171], v[162:163]
	v_fma_f64 v[210:211], v[168:169], v[160:161], -v[210:211]
	v_mul_f64 v[242:243], v[168:169], v[162:163]
	v_mul_f64 v[168:169], v[166:167], v[158:159]
	v_fma_f64 v[244:245], v[164:165], v[156:157], -v[168:169]
	v_add_u32_e32 v168, 0x960, v224
	v_fmac_f64_e32 v[242:243], v[170:171], v[160:161]
	v_fmac_f64_e32 v[246:247], v[166:167], v[156:157]
	global_load_dwordx4 v[164:167], v168, s[6:7] offset:1936
	s_nop 0
	global_load_dwordx4 v[168:171], v168, s[6:7] offset:1920
	s_waitcnt vmcnt(1) lgkmcnt(3)
	v_mul_f64 v[254:255], v[172:173], v[166:167]
	s_waitcnt vmcnt(0)
	v_mul_f64 v[228:229], v[178:179], v[170:171]
	v_fma_f64 v[248:249], v[176:177], v[168:169], -v[228:229]
	v_mul_f64 v[250:251], v[176:177], v[170:171]
	v_mul_f64 v[176:177], v[174:175], v[166:167]
	v_fma_f64 v[252:253], v[172:173], v[164:165], -v[176:177]
	v_add_u32_e32 v176, 0xc80, v224
	v_fmac_f64_e32 v[250:251], v[178:179], v[168:169]
	v_fmac_f64_e32 v[254:255], v[174:175], v[164:165]
	global_load_dwordx4 v[172:175], v176, s[6:7] offset:1936
	s_nop 0
	global_load_dwordx4 v[176:179], v176, s[6:7] offset:1920
	s_mov_b32 s6, 0xe8584caa
	s_mov_b32 s7, 0x3febb67a
	;; [unrolled: 1-line block ×3, first 2 shown]
	s_waitcnt vmcnt(0) lgkmcnt(1)
	v_mul_f64 v[224:225], v[206:207], v[178:179]
	v_fma_f64 v[212:213], v[204:205], v[176:177], -v[224:225]
	v_mul_f64 v[204:205], v[204:205], v[178:179]
	v_fmac_f64_e32 v[204:205], v[206:207], v[176:177]
	s_waitcnt lgkmcnt(0)
	v_mul_f64 v[206:207], v[202:203], v[174:175]
	v_fma_f64 v[206:207], v[200:201], v[172:173], -v[206:207]
	v_mul_f64 v[200:201], v[200:201], v[174:175]
	v_fmac_f64_e32 v[200:201], v[202:203], v[172:173]
	v_add_f64 v[202:203], v[196:197], v[230:231]
	v_add_f64 v[236:237], v[202:203], v[216:217]
	v_add_f64 v[202:203], v[230:231], v[216:217]
	v_fmac_f64_e32 v[196:197], -0.5, v[202:203]
	v_add_f64 v[202:203], v[214:215], -v[218:219]
	v_fma_f64 v[232:233], s[6:7], v[202:203], v[196:197]
	v_fmac_f64_e32 v[196:197], s[14:15], v[202:203]
	v_add_f64 v[202:203], v[198:199], v[214:215]
	v_add_f64 v[238:239], v[202:203], v[218:219]
	v_add_f64 v[202:203], v[214:215], v[218:219]
	v_fmac_f64_e32 v[198:199], -0.5, v[202:203]
	v_add_f64 v[202:203], v[230:231], -v[216:217]
	v_fma_f64 v[234:235], s[14:15], v[202:203], v[198:199]
	;; [unrolled: 7-line block ×10, first 2 shown]
	v_fmac_f64_e32 v[182:183], s[6:7], v[200:201]
	ds_write_b128 v0, v[236:239]
	ds_write_b128 v0, v[232:235] offset:2000
	ds_write_b128 v0, v[196:199] offset:4000
	;; [unrolled: 1-line block ×14, first 2 shown]
	s_waitcnt lgkmcnt(0)
	s_barrier
	global_load_dwordx4 v[186:189], v[240:241], off offset:1904
	ds_read_b128 v[182:185], v0
	v_lshl_add_u64 v[180:181], v[2:3], 0, s[16:17]
	s_movk_i32 s16, 0x2000
	v_add_co_u32_e32 v2, vcc, s16, v2
	s_waitcnt vmcnt(0) lgkmcnt(0)
	v_mul_f64 v[190:191], v[184:185], v[188:189]
	v_mul_f64 v[192:193], v[182:183], v[188:189]
	v_fma_f64 v[190:191], v[182:183], v[186:187], -v[190:191]
	v_fmac_f64_e32 v[192:193], v[184:185], v[186:187]
	global_load_dwordx4 v[186:189], v[180:181], off offset:1200
	ds_read_b128 v[182:185], v0 offset:1200
	ds_write_b128 v0, v[190:193]
	v_addc_co_u32_e32 v3, vcc, 0, v3, vcc
	s_waitcnt vmcnt(0) lgkmcnt(1)
	v_mul_f64 v[190:191], v[184:185], v[188:189]
	v_mul_f64 v[192:193], v[182:183], v[188:189]
	v_fma_f64 v[190:191], v[182:183], v[186:187], -v[190:191]
	v_fmac_f64_e32 v[192:193], v[184:185], v[186:187]
	global_load_dwordx4 v[186:189], v[180:181], off offset:2400
	ds_read_b128 v[182:185], v0 offset:2400
	ds_write_b128 v0, v[190:193] offset:1200
	s_waitcnt vmcnt(0) lgkmcnt(1)
	v_mul_f64 v[190:191], v[184:185], v[188:189]
	v_mul_f64 v[192:193], v[182:183], v[188:189]
	v_fma_f64 v[190:191], v[182:183], v[186:187], -v[190:191]
	v_fmac_f64_e32 v[192:193], v[184:185], v[186:187]
	global_load_dwordx4 v[186:189], v[180:181], off offset:3600
	ds_read_b128 v[182:185], v0 offset:3600
	ds_write_b128 v0, v[190:193] offset:2400
	;; [unrolled: 8-line block ×11, first 2 shown]
	s_waitcnt vmcnt(0) lgkmcnt(1)
	v_mul_f64 v[180:181], v[184:185], v[188:189]
	v_fma_f64 v[180:181], v[182:183], v[186:187], -v[180:181]
	v_mul_f64 v[182:183], v[182:183], v[188:189]
	v_fmac_f64_e32 v[182:183], v[184:185], v[186:187]
	global_load_dwordx4 v[184:187], v[2:3], off offset:2208
	ds_write_b128 v0, v[180:183] offset:3200
	ds_read_b128 v[180:183], v0 offset:4400
	s_waitcnt vmcnt(0) lgkmcnt(0)
	v_mul_f64 v[188:189], v[182:183], v[186:187]
	v_mul_f64 v[190:191], v[180:181], v[186:187]
	v_fma_f64 v[188:189], v[180:181], v[184:185], -v[188:189]
	v_fmac_f64_e32 v[190:191], v[182:183], v[184:185]
	global_load_dwordx4 v[184:187], v[2:3], off offset:3408
	ds_read_b128 v[180:183], v0 offset:5600
	ds_write_b128 v0, v[188:191] offset:4400
	s_waitcnt vmcnt(0) lgkmcnt(1)
	v_mul_f64 v[2:3], v[182:183], v[186:187]
	v_mul_f64 v[190:191], v[180:181], v[186:187]
	v_fma_f64 v[188:189], v[180:181], v[184:185], -v[2:3]
	v_fmac_f64_e32 v[190:191], v[182:183], v[184:185]
	ds_write_b128 v0, v[188:191] offset:5600
	s_waitcnt lgkmcnt(0)
	s_barrier
	ds_read_b128 v[188:191], v0
	ds_read_b128 v[228:231], v0 offset:1200
	ds_read_b128 v[232:235], v0 offset:2400
	;; [unrolled: 1-line block ×14, first 2 shown]
	s_waitcnt lgkmcnt(13)
	v_add_f64 v[2:3], v[188:189], v[228:229]
	s_waitcnt lgkmcnt(12)
	v_add_f64 v[2:3], v[2:3], v[232:233]
	;; [unrolled: 2-line block ×4, first 2 shown]
	v_add_f64 v[2:3], v[232:233], v[220:221]
	v_fma_f64 v[192:193], -0.5, v[2:3], v[188:189]
	v_add_f64 v[2:3], v[230:231], -v[226:227]
	v_fma_f64 v[200:201], s[12:13], v[2:3], v[192:193]
	v_add_f64 v[194:195], v[234:235], -v[222:223]
	v_add_f64 v[196:197], v[228:229], -v[232:233]
	;; [unrolled: 1-line block ×3, first 2 shown]
	v_fmac_f64_e32 v[192:193], s[2:3], v[2:3]
	v_fmac_f64_e32 v[200:201], s[10:11], v[194:195]
	v_add_f64 v[196:197], v[196:197], v[198:199]
	v_fmac_f64_e32 v[192:193], s[4:5], v[194:195]
	v_fmac_f64_e32 v[200:201], s[8:9], v[196:197]
	;; [unrolled: 1-line block ×3, first 2 shown]
	v_add_f64 v[196:197], v[228:229], v[224:225]
	v_fmac_f64_e32 v[188:189], -0.5, v[196:197]
	v_fma_f64 v[196:197], s[2:3], v[194:195], v[188:189]
	v_fmac_f64_e32 v[188:189], s[12:13], v[194:195]
	v_fmac_f64_e32 v[196:197], s[10:11], v[2:3]
	v_fmac_f64_e32 v[188:189], s[4:5], v[2:3]
	v_add_f64 v[2:3], v[190:191], v[230:231]
	v_add_f64 v[2:3], v[2:3], v[234:235]
	;; [unrolled: 1-line block ×3, first 2 shown]
	v_add_f64 v[198:199], v[232:233], -v[228:229]
	v_add_f64 v[202:203], v[220:221], -v[224:225]
	v_add_f64 v[238:239], v[2:3], v[226:227]
	v_add_f64 v[2:3], v[234:235], v[222:223]
	;; [unrolled: 1-line block ×3, first 2 shown]
	v_fma_f64 v[194:195], -0.5, v[2:3], v[190:191]
	v_add_f64 v[2:3], v[228:229], -v[224:225]
	v_fmac_f64_e32 v[196:197], s[8:9], v[198:199]
	v_fmac_f64_e32 v[188:189], s[8:9], v[198:199]
	v_fma_f64 v[202:203], s[2:3], v[2:3], v[194:195]
	v_add_f64 v[220:221], v[232:233], -v[220:221]
	v_add_f64 v[198:199], v[230:231], -v[234:235]
	v_add_f64 v[224:225], v[226:227], -v[222:223]
	v_fmac_f64_e32 v[194:195], s[12:13], v[2:3]
	v_fmac_f64_e32 v[202:203], s[4:5], v[220:221]
	v_add_f64 v[198:199], v[198:199], v[224:225]
	v_fmac_f64_e32 v[194:195], s[10:11], v[220:221]
	v_fmac_f64_e32 v[202:203], s[8:9], v[198:199]
	;; [unrolled: 1-line block ×3, first 2 shown]
	v_add_f64 v[198:199], v[230:231], v[226:227]
	v_fmac_f64_e32 v[190:191], -0.5, v[198:199]
	v_fma_f64 v[198:199], s[12:13], v[220:221], v[190:191]
	v_fmac_f64_e32 v[190:191], s[2:3], v[220:221]
	v_fmac_f64_e32 v[198:199], s[4:5], v[2:3]
	v_fmac_f64_e32 v[190:191], s[10:11], v[2:3]
	s_waitcnt lgkmcnt(8)
	v_add_f64 v[2:3], v[184:185], v[248:249]
	s_waitcnt lgkmcnt(7)
	v_add_f64 v[2:3], v[2:3], v[252:253]
	;; [unrolled: 2-line block ×3, first 2 shown]
	v_add_f64 v[224:225], v[234:235], -v[230:231]
	v_add_f64 v[222:223], v[222:223], -v[226:227]
	s_waitcnt lgkmcnt(5)
	v_add_f64 v[232:233], v[2:3], v[244:245]
	v_add_f64 v[2:3], v[252:253], v[240:241]
	;; [unrolled: 1-line block ×3, first 2 shown]
	v_fma_f64 v[220:221], -0.5, v[2:3], v[184:185]
	v_add_f64 v[2:3], v[250:251], -v[246:247]
	v_fmac_f64_e32 v[198:199], s[8:9], v[222:223]
	v_fmac_f64_e32 v[190:191], s[8:9], v[222:223]
	v_fma_f64 v[228:229], s[12:13], v[2:3], v[220:221]
	v_add_f64 v[222:223], v[254:255], -v[242:243]
	v_add_f64 v[224:225], v[248:249], -v[252:253]
	;; [unrolled: 1-line block ×3, first 2 shown]
	v_fmac_f64_e32 v[220:221], s[2:3], v[2:3]
	v_fmac_f64_e32 v[228:229], s[10:11], v[222:223]
	v_add_f64 v[224:225], v[224:225], v[226:227]
	v_fmac_f64_e32 v[220:221], s[4:5], v[222:223]
	v_fmac_f64_e32 v[228:229], s[8:9], v[224:225]
	;; [unrolled: 1-line block ×3, first 2 shown]
	v_add_f64 v[224:225], v[248:249], v[244:245]
	v_fmac_f64_e32 v[184:185], -0.5, v[224:225]
	v_fma_f64 v[224:225], s[2:3], v[222:223], v[184:185]
	v_fmac_f64_e32 v[184:185], s[12:13], v[222:223]
	v_fmac_f64_e32 v[224:225], s[10:11], v[2:3]
	;; [unrolled: 1-line block ×3, first 2 shown]
	v_add_f64 v[2:3], v[186:187], v[250:251]
	v_add_f64 v[2:3], v[2:3], v[254:255]
	;; [unrolled: 1-line block ×3, first 2 shown]
	v_add_f64 v[226:227], v[252:253], -v[248:249]
	v_add_f64 v[230:231], v[240:241], -v[244:245]
	v_add_f64 v[234:235], v[2:3], v[246:247]
	v_add_f64 v[2:3], v[254:255], v[242:243]
	;; [unrolled: 1-line block ×3, first 2 shown]
	v_fma_f64 v[222:223], -0.5, v[2:3], v[186:187]
	v_add_f64 v[2:3], v[248:249], -v[244:245]
	v_fmac_f64_e32 v[224:225], s[8:9], v[226:227]
	v_fmac_f64_e32 v[184:185], s[8:9], v[226:227]
	v_fma_f64 v[230:231], s[2:3], v[2:3], v[222:223]
	v_add_f64 v[240:241], v[252:253], -v[240:241]
	v_add_f64 v[226:227], v[250:251], -v[254:255]
	;; [unrolled: 1-line block ×3, first 2 shown]
	v_fmac_f64_e32 v[222:223], s[12:13], v[2:3]
	v_fmac_f64_e32 v[230:231], s[4:5], v[240:241]
	v_add_f64 v[226:227], v[226:227], v[244:245]
	v_fmac_f64_e32 v[222:223], s[10:11], v[240:241]
	v_fmac_f64_e32 v[230:231], s[8:9], v[226:227]
	;; [unrolled: 1-line block ×3, first 2 shown]
	v_add_f64 v[226:227], v[250:251], v[246:247]
	v_fmac_f64_e32 v[186:187], -0.5, v[226:227]
	v_fma_f64 v[226:227], s[12:13], v[240:241], v[186:187]
	v_fmac_f64_e32 v[186:187], s[2:3], v[240:241]
	v_fmac_f64_e32 v[226:227], s[4:5], v[2:3]
	;; [unrolled: 1-line block ×3, first 2 shown]
	s_waitcnt lgkmcnt(3)
	v_add_f64 v[2:3], v[180:181], v[212:213]
	s_waitcnt lgkmcnt(2)
	v_add_f64 v[2:3], v[2:3], v[216:217]
	;; [unrolled: 2-line block ×3, first 2 shown]
	v_add_f64 v[244:245], v[254:255], -v[250:251]
	v_add_f64 v[242:243], v[242:243], -v[246:247]
	s_waitcnt lgkmcnt(0)
	v_add_f64 v[252:253], v[2:3], v[208:209]
	v_add_f64 v[2:3], v[216:217], v[204:205]
	;; [unrolled: 1-line block ×3, first 2 shown]
	v_fma_f64 v[240:241], -0.5, v[2:3], v[180:181]
	v_add_f64 v[2:3], v[214:215], -v[210:211]
	v_fmac_f64_e32 v[226:227], s[8:9], v[242:243]
	v_fmac_f64_e32 v[186:187], s[8:9], v[242:243]
	v_fma_f64 v[248:249], s[12:13], v[2:3], v[240:241]
	v_add_f64 v[242:243], v[218:219], -v[206:207]
	v_add_f64 v[244:245], v[212:213], -v[216:217]
	;; [unrolled: 1-line block ×3, first 2 shown]
	v_fmac_f64_e32 v[240:241], s[2:3], v[2:3]
	v_fmac_f64_e32 v[248:249], s[10:11], v[242:243]
	v_add_f64 v[244:245], v[244:245], v[246:247]
	v_fmac_f64_e32 v[240:241], s[4:5], v[242:243]
	v_fmac_f64_e32 v[248:249], s[8:9], v[244:245]
	;; [unrolled: 1-line block ×3, first 2 shown]
	v_add_f64 v[244:245], v[212:213], v[208:209]
	v_fmac_f64_e32 v[180:181], -0.5, v[244:245]
	v_fma_f64 v[244:245], s[2:3], v[242:243], v[180:181]
	v_fmac_f64_e32 v[180:181], s[12:13], v[242:243]
	v_fmac_f64_e32 v[244:245], s[10:11], v[2:3]
	v_fmac_f64_e32 v[180:181], s[4:5], v[2:3]
	v_add_f64 v[2:3], v[182:183], v[214:215]
	v_add_f64 v[2:3], v[2:3], v[218:219]
	;; [unrolled: 1-line block ×5, first 2 shown]
	v_add_f64 v[246:247], v[216:217], -v[212:213]
	v_add_f64 v[250:251], v[204:205], -v[208:209]
	v_fma_f64 v[242:243], -0.5, v[2:3], v[182:183]
	v_add_f64 v[2:3], v[212:213], -v[208:209]
	v_add_f64 v[246:247], v[246:247], v[250:251]
	v_fma_f64 v[250:251], s[2:3], v[2:3], v[242:243]
	v_add_f64 v[204:205], v[216:217], -v[204:205]
	v_add_f64 v[208:209], v[214:215], -v[218:219]
	;; [unrolled: 1-line block ×3, first 2 shown]
	v_fmac_f64_e32 v[242:243], s[12:13], v[2:3]
	v_fmac_f64_e32 v[250:251], s[4:5], v[204:205]
	v_add_f64 v[208:209], v[208:209], v[212:213]
	v_fmac_f64_e32 v[242:243], s[10:11], v[204:205]
	v_fmac_f64_e32 v[250:251], s[8:9], v[208:209]
	;; [unrolled: 1-line block ×3, first 2 shown]
	v_add_f64 v[208:209], v[214:215], v[210:211]
	v_fmac_f64_e32 v[182:183], -0.5, v[208:209]
	v_fmac_f64_e32 v[244:245], s[8:9], v[246:247]
	v_fmac_f64_e32 v[180:181], s[8:9], v[246:247]
	v_fma_f64 v[246:247], s[12:13], v[204:205], v[182:183]
	v_add_f64 v[208:209], v[218:219], -v[214:215]
	v_add_f64 v[206:207], v[206:207], -v[210:211]
	v_fmac_f64_e32 v[182:183], s[2:3], v[204:205]
	v_add_f64 v[206:207], v[208:209], v[206:207]
	v_fmac_f64_e32 v[182:183], s[10:11], v[2:3]
	v_fmac_f64_e32 v[246:247], s[4:5], v[2:3]
	;; [unrolled: 1-line block ×4, first 2 shown]
	s_barrier
	ds_write_b128 v5, v[236:239]
	ds_write_b128 v5, v[200:203] offset:16
	ds_write_b128 v5, v[196:199] offset:32
	ds_write_b128 v5, v[188:191] offset:48
	ds_write_b128 v5, v[192:195] offset:64
	ds_write_b128 v7, v[232:235]
	ds_write_b128 v7, v[228:231] offset:16
	ds_write_b128 v7, v[224:227] offset:32
	ds_write_b128 v7, v[184:187] offset:48
	ds_write_b128 v7, v[220:223] offset:64
	;; [unrolled: 5-line block ×3, first 2 shown]
	s_waitcnt lgkmcnt(0)
	s_barrier
	ds_read_b128 v[188:191], v0
	ds_read_b128 v[192:195], v0 offset:1200
	ds_read_b128 v[196:199], v0 offset:2400
	;; [unrolled: 1-line block ×14, first 2 shown]
	s_waitcnt lgkmcnt(13)
	v_mul_f64 v[2:3], v[74:75], v[194:195]
	v_mul_f64 v[74:75], v[74:75], v[192:193]
	v_fmac_f64_e32 v[2:3], v[72:73], v[192:193]
	v_fma_f64 v[72:73], v[72:73], v[194:195], -v[74:75]
	s_waitcnt lgkmcnt(12)
	v_mul_f64 v[74:75], v[70:71], v[198:199]
	v_mul_f64 v[70:71], v[70:71], v[196:197]
	v_fmac_f64_e32 v[74:75], v[68:69], v[196:197]
	v_fma_f64 v[68:69], v[68:69], v[198:199], -v[70:71]
	;; [unrolled: 5-line block ×3, first 2 shown]
	s_waitcnt lgkmcnt(8)
	v_mul_f64 v[64:65], v[90:91], v[208:209]
	v_fma_f64 v[196:197], v[88:89], v[210:211], -v[64:65]
	s_waitcnt lgkmcnt(7)
	v_mul_f64 v[64:65], v[86:87], v[212:213]
	v_mul_f64 v[194:195], v[62:63], v[206:207]
	;; [unrolled: 1-line block ×3, first 2 shown]
	v_fma_f64 v[200:201], v[84:85], v[214:215], -v[64:65]
	s_waitcnt lgkmcnt(6)
	v_mul_f64 v[64:65], v[82:83], v[216:217]
	v_fmac_f64_e32 v[194:195], v[60:61], v[204:205]
	v_fma_f64 v[60:61], v[60:61], v[206:207], -v[62:63]
	v_fma_f64 v[204:205], v[80:81], v[218:219], -v[64:65]
	s_waitcnt lgkmcnt(5)
	v_mul_f64 v[206:207], v[78:79], v[222:223]
	v_mul_f64 v[64:65], v[78:79], v[220:221]
	;; [unrolled: 1-line block ×3, first 2 shown]
	v_fmac_f64_e32 v[206:207], v[76:77], v[220:221]
	v_fma_f64 v[76:77], v[76:77], v[222:223], -v[64:65]
	s_waitcnt lgkmcnt(3)
	v_mul_f64 v[64:65], v[106:107], v[224:225]
	v_fmac_f64_e32 v[62:63], v[88:89], v[208:209]
	v_mul_f64 v[198:199], v[86:87], v[214:215]
	v_fma_f64 v[208:209], v[104:105], v[226:227], -v[64:65]
	s_waitcnt lgkmcnt(2)
	v_mul_f64 v[64:65], v[102:103], v[228:229]
	v_fmac_f64_e32 v[198:199], v[84:85], v[212:213]
	v_mul_f64 v[202:203], v[82:83], v[218:219]
	v_fma_f64 v[212:213], v[100:101], v[230:231], -v[64:65]
	s_waitcnt lgkmcnt(1)
	v_mul_f64 v[64:65], v[98:99], v[232:233]
	v_fmac_f64_e32 v[202:203], v[80:81], v[216:217]
	v_fma_f64 v[216:217], v[96:97], v[234:235], -v[64:65]
	s_waitcnt lgkmcnt(0)
	v_mul_f64 v[64:65], v[94:95], v[236:237]
	v_fma_f64 v[220:221], v[92:93], v[238:239], -v[64:65]
	v_add_f64 v[64:65], v[188:189], v[2:3]
	v_add_f64 v[64:65], v[64:65], v[74:75]
	v_mul_f64 v[214:215], v[98:99], v[234:235]
	v_add_f64 v[64:65], v[64:65], v[70:71]
	v_fmac_f64_e32 v[214:215], v[96:97], v[232:233]
	v_add_f64 v[96:97], v[64:65], v[194:195]
	v_add_f64 v[64:65], v[74:75], v[70:71]
	v_fma_f64 v[64:65], -0.5, v[64:65], v[188:189]
	v_add_f64 v[66:67], v[72:73], -v[60:61]
	v_fma_f64 v[88:89], s[12:13], v[66:67], v[64:65]
	v_add_f64 v[80:81], v[68:69], -v[192:193]
	v_add_f64 v[82:83], v[2:3], -v[74:75]
	;; [unrolled: 1-line block ×3, first 2 shown]
	v_fmac_f64_e32 v[64:65], s[2:3], v[66:67]
	v_fmac_f64_e32 v[88:89], s[10:11], v[80:81]
	v_add_f64 v[82:83], v[82:83], v[84:85]
	v_fmac_f64_e32 v[64:65], s[4:5], v[80:81]
	v_fmac_f64_e32 v[88:89], s[8:9], v[82:83]
	;; [unrolled: 1-line block ×3, first 2 shown]
	v_add_f64 v[82:83], v[2:3], v[194:195]
	v_fmac_f64_e32 v[188:189], -0.5, v[82:83]
	v_fma_f64 v[84:85], s[2:3], v[80:81], v[188:189]
	v_fmac_f64_e32 v[188:189], s[12:13], v[80:81]
	v_fmac_f64_e32 v[84:85], s[10:11], v[66:67]
	;; [unrolled: 1-line block ×3, first 2 shown]
	v_add_f64 v[66:67], v[190:191], v[72:73]
	v_add_f64 v[66:67], v[66:67], v[68:69]
	v_add_f64 v[66:67], v[66:67], v[192:193]
	v_add_f64 v[98:99], v[66:67], v[60:61]
	v_add_f64 v[66:67], v[68:69], v[192:193]
	v_add_f64 v[82:83], v[74:75], -v[2:3]
	v_fma_f64 v[66:67], -0.5, v[66:67], v[190:191]
	v_add_f64 v[2:3], v[2:3], -v[194:195]
	v_add_f64 v[86:87], v[70:71], -v[194:195]
	v_fma_f64 v[90:91], s[2:3], v[2:3], v[66:67]
	v_add_f64 v[70:71], v[74:75], -v[70:71]
	v_add_f64 v[74:75], v[72:73], -v[68:69]
	;; [unrolled: 1-line block ×3, first 2 shown]
	v_fmac_f64_e32 v[66:67], s[12:13], v[2:3]
	v_fmac_f64_e32 v[90:91], s[4:5], v[70:71]
	v_add_f64 v[74:75], v[74:75], v[80:81]
	v_fmac_f64_e32 v[66:67], s[10:11], v[70:71]
	v_fmac_f64_e32 v[90:91], s[8:9], v[74:75]
	;; [unrolled: 1-line block ×3, first 2 shown]
	v_add_f64 v[74:75], v[72:73], v[60:61]
	v_fmac_f64_e32 v[190:191], -0.5, v[74:75]
	v_add_f64 v[82:83], v[82:83], v[86:87]
	v_fma_f64 v[86:87], s[12:13], v[70:71], v[190:191]
	v_fmac_f64_e32 v[190:191], s[2:3], v[70:71]
	v_fmac_f64_e32 v[86:87], s[4:5], v[2:3]
	;; [unrolled: 1-line block ×3, first 2 shown]
	v_add_f64 v[2:3], v[180:181], v[62:63]
	v_add_f64 v[2:3], v[2:3], v[198:199]
	v_mul_f64 v[78:79], v[106:107], v[226:227]
	v_add_f64 v[2:3], v[2:3], v[202:203]
	v_fmac_f64_e32 v[78:79], v[104:105], v[224:225]
	v_add_f64 v[68:69], v[68:69], -v[72:73]
	v_add_f64 v[60:61], v[192:193], -v[60:61]
	v_add_f64 v[104:105], v[2:3], v[206:207]
	v_add_f64 v[2:3], v[198:199], v[202:203]
	v_mul_f64 v[210:211], v[102:103], v[230:231]
	v_add_f64 v[60:61], v[68:69], v[60:61]
	v_fma_f64 v[80:81], -0.5, v[2:3], v[180:181]
	v_add_f64 v[2:3], v[196:197], -v[76:77]
	v_fmac_f64_e32 v[210:211], v[100:101], v[228:229]
	v_fmac_f64_e32 v[86:87], s[8:9], v[60:61]
	;; [unrolled: 1-line block ×3, first 2 shown]
	v_fma_f64 v[100:101], s[12:13], v[2:3], v[80:81]
	v_add_f64 v[60:61], v[200:201], -v[204:205]
	v_add_f64 v[68:69], v[62:63], -v[198:199]
	;; [unrolled: 1-line block ×3, first 2 shown]
	v_fmac_f64_e32 v[80:81], s[2:3], v[2:3]
	v_fmac_f64_e32 v[100:101], s[10:11], v[60:61]
	v_add_f64 v[68:69], v[68:69], v[70:71]
	v_fmac_f64_e32 v[80:81], s[4:5], v[60:61]
	v_fmac_f64_e32 v[100:101], s[8:9], v[68:69]
	;; [unrolled: 1-line block ×3, first 2 shown]
	v_add_f64 v[68:69], v[62:63], v[206:207]
	v_mul_f64 v[218:219], v[94:95], v[238:239]
	v_fmac_f64_e32 v[180:181], -0.5, v[68:69]
	v_fmac_f64_e32 v[218:219], v[92:93], v[236:237]
	v_fma_f64 v[92:93], s[2:3], v[60:61], v[180:181]
	v_fmac_f64_e32 v[180:181], s[12:13], v[60:61]
	v_fmac_f64_e32 v[92:93], s[10:11], v[2:3]
	;; [unrolled: 1-line block ×3, first 2 shown]
	v_add_f64 v[2:3], v[182:183], v[196:197]
	v_add_f64 v[2:3], v[2:3], v[200:201]
	;; [unrolled: 1-line block ×3, first 2 shown]
	v_add_f64 v[68:69], v[198:199], -v[62:63]
	v_add_f64 v[70:71], v[202:203], -v[206:207]
	v_add_f64 v[106:107], v[2:3], v[76:77]
	v_add_f64 v[2:3], v[200:201], v[204:205]
	v_fmac_f64_e32 v[84:85], s[8:9], v[82:83]
	v_fmac_f64_e32 v[188:189], s[8:9], v[82:83]
	v_add_f64 v[68:69], v[68:69], v[70:71]
	v_fma_f64 v[82:83], -0.5, v[2:3], v[182:183]
	v_add_f64 v[2:3], v[62:63], -v[206:207]
	v_fmac_f64_e32 v[92:93], s[8:9], v[68:69]
	v_fmac_f64_e32 v[180:181], s[8:9], v[68:69]
	v_fma_f64 v[102:103], s[2:3], v[2:3], v[82:83]
	v_add_f64 v[60:61], v[198:199], -v[202:203]
	v_add_f64 v[62:63], v[196:197], -v[200:201]
	;; [unrolled: 1-line block ×3, first 2 shown]
	v_fmac_f64_e32 v[82:83], s[12:13], v[2:3]
	v_fmac_f64_e32 v[102:103], s[4:5], v[60:61]
	v_add_f64 v[62:63], v[62:63], v[68:69]
	v_fmac_f64_e32 v[82:83], s[10:11], v[60:61]
	v_fmac_f64_e32 v[102:103], s[8:9], v[62:63]
	;; [unrolled: 1-line block ×3, first 2 shown]
	v_add_f64 v[62:63], v[196:197], v[76:77]
	v_fmac_f64_e32 v[182:183], -0.5, v[62:63]
	v_fma_f64 v[94:95], s[12:13], v[60:61], v[182:183]
	v_fmac_f64_e32 v[182:183], s[2:3], v[60:61]
	v_fmac_f64_e32 v[94:95], s[4:5], v[2:3]
	;; [unrolled: 1-line block ×3, first 2 shown]
	v_add_f64 v[2:3], v[184:185], v[78:79]
	v_add_f64 v[2:3], v[2:3], v[210:211]
	;; [unrolled: 1-line block ×3, first 2 shown]
	v_add_f64 v[62:63], v[200:201], -v[196:197]
	v_add_f64 v[68:69], v[204:205], -v[76:77]
	v_add_f64 v[72:73], v[2:3], v[218:219]
	v_add_f64 v[2:3], v[210:211], v[214:215]
	;; [unrolled: 1-line block ×3, first 2 shown]
	v_fma_f64 v[60:61], -0.5, v[2:3], v[184:185]
	v_add_f64 v[2:3], v[208:209], -v[220:221]
	v_fmac_f64_e32 v[94:95], s[8:9], v[62:63]
	v_fmac_f64_e32 v[182:183], s[8:9], v[62:63]
	v_fma_f64 v[68:69], s[12:13], v[2:3], v[60:61]
	v_add_f64 v[62:63], v[212:213], -v[216:217]
	v_add_f64 v[70:71], v[78:79], -v[210:211]
	;; [unrolled: 1-line block ×3, first 2 shown]
	v_fmac_f64_e32 v[60:61], s[2:3], v[2:3]
	v_fmac_f64_e32 v[68:69], s[10:11], v[62:63]
	v_add_f64 v[70:71], v[70:71], v[74:75]
	v_fmac_f64_e32 v[60:61], s[4:5], v[62:63]
	v_fmac_f64_e32 v[68:69], s[8:9], v[70:71]
	;; [unrolled: 1-line block ×3, first 2 shown]
	v_add_f64 v[70:71], v[78:79], v[218:219]
	v_fmac_f64_e32 v[184:185], -0.5, v[70:71]
	v_fma_f64 v[76:77], s[2:3], v[62:63], v[184:185]
	v_fmac_f64_e32 v[184:185], s[12:13], v[62:63]
	v_fmac_f64_e32 v[76:77], s[10:11], v[2:3]
	v_fmac_f64_e32 v[184:185], s[4:5], v[2:3]
	v_add_f64 v[2:3], v[186:187], v[208:209]
	v_add_f64 v[2:3], v[2:3], v[212:213]
	v_add_f64 v[70:71], v[210:211], -v[78:79]
	v_add_f64 v[74:75], v[214:215], -v[218:219]
	v_add_f64 v[2:3], v[2:3], v[216:217]
	v_add_f64 v[70:71], v[70:71], v[74:75]
	;; [unrolled: 1-line block ×4, first 2 shown]
	v_fma_f64 v[62:63], -0.5, v[2:3], v[186:187]
	v_add_f64 v[2:3], v[78:79], -v[218:219]
	v_fmac_f64_e32 v[76:77], s[8:9], v[70:71]
	v_fmac_f64_e32 v[184:185], s[8:9], v[70:71]
	v_fma_f64 v[70:71], s[2:3], v[2:3], v[62:63]
	v_add_f64 v[192:193], v[210:211], -v[214:215]
	v_add_f64 v[78:79], v[208:209], -v[212:213]
	;; [unrolled: 1-line block ×3, first 2 shown]
	v_fmac_f64_e32 v[62:63], s[12:13], v[2:3]
	v_fmac_f64_e32 v[70:71], s[4:5], v[192:193]
	v_add_f64 v[78:79], v[78:79], v[194:195]
	v_fmac_f64_e32 v[62:63], s[10:11], v[192:193]
	v_fmac_f64_e32 v[70:71], s[8:9], v[78:79]
	;; [unrolled: 1-line block ×3, first 2 shown]
	v_add_f64 v[78:79], v[208:209], v[220:221]
	v_fmac_f64_e32 v[186:187], -0.5, v[78:79]
	v_fma_f64 v[78:79], s[12:13], v[192:193], v[186:187]
	v_add_f64 v[194:195], v[212:213], -v[208:209]
	v_add_f64 v[196:197], v[216:217], -v[220:221]
	v_fmac_f64_e32 v[186:187], s[2:3], v[192:193]
	v_fmac_f64_e32 v[78:79], s[4:5], v[2:3]
	v_add_f64 v[194:195], v[194:195], v[196:197]
	v_fmac_f64_e32 v[186:187], s[10:11], v[2:3]
	v_fmac_f64_e32 v[78:79], s[8:9], v[194:195]
	;; [unrolled: 1-line block ×3, first 2 shown]
	s_barrier
	ds_write_b128 v4, v[96:99]
	ds_write_b128 v4, v[88:91] offset:80
	ds_write_b128 v4, v[84:87] offset:160
	ds_write_b128 v4, v[188:191] offset:240
	ds_write_b128 v4, v[64:67] offset:320
	ds_write_b128 v9, v[104:107]
	ds_write_b128 v9, v[100:103] offset:80
	ds_write_b128 v9, v[92:95] offset:160
	ds_write_b128 v9, v[180:183] offset:240
	ds_write_b128 v9, v[80:83] offset:320
	;; [unrolled: 5-line block ×3, first 2 shown]
	s_waitcnt lgkmcnt(0)
	s_barrier
	ds_read_b128 v[64:67], v0
	ds_read_b128 v[2:5], v0 offset:1200
	ds_read_b128 v[72:75], v0 offset:2400
	;; [unrolled: 1-line block ×14, first 2 shown]
	s_waitcnt lgkmcnt(13)
	v_mul_f64 v[8:9], v[122:123], v[4:5]
	v_fmac_f64_e32 v[8:9], v[120:121], v[2:3]
	v_mul_f64 v[2:3], v[122:123], v[2:3]
	v_fma_f64 v[2:3], v[120:121], v[4:5], -v[2:3]
	s_waitcnt lgkmcnt(12)
	v_mul_f64 v[4:5], v[118:119], v[74:75]
	v_fmac_f64_e32 v[4:5], v[116:117], v[72:73]
	v_mul_f64 v[72:73], v[118:119], v[72:73]
	v_fma_f64 v[188:189], v[116:117], v[74:75], -v[72:73]
	s_waitcnt lgkmcnt(11)
	v_mul_f64 v[72:73], v[114:115], v[76:77]
	v_mul_f64 v[190:191], v[114:115], v[78:79]
	v_fma_f64 v[192:193], v[112:113], v[78:79], -v[72:73]
	s_waitcnt lgkmcnt(10)
	v_mul_f64 v[78:79], v[110:111], v[82:83]
	v_mul_f64 v[72:73], v[110:111], v[80:81]
	v_fmac_f64_e32 v[78:79], v[108:109], v[80:81]
	v_fma_f64 v[80:81], v[108:109], v[82:83], -v[72:73]
	s_waitcnt lgkmcnt(8)
	v_mul_f64 v[194:195], v[122:123], v[86:87]
	v_mul_f64 v[72:73], v[122:123], v[84:85]
	v_fmac_f64_e32 v[194:195], v[120:121], v[84:85]
	v_fma_f64 v[120:121], v[120:121], v[86:87], -v[72:73]
	s_waitcnt lgkmcnt(7)
	v_mul_f64 v[72:73], v[118:119], v[88:89]
	v_fma_f64 v[196:197], v[116:117], v[90:91], -v[72:73]
	s_waitcnt lgkmcnt(6)
	v_mul_f64 v[72:73], v[114:115], v[92:93]
	;; [unrolled: 3-line block ×3, first 2 shown]
	v_mul_f64 v[72:73], v[110:111], v[96:97]
	v_fmac_f64_e32 v[86:87], v[108:109], v[96:97]
	v_fma_f64 v[96:97], v[108:109], v[98:99], -v[72:73]
	s_waitcnt lgkmcnt(3)
	v_mul_f64 v[110:111], v[138:139], v[102:103]
	v_mul_f64 v[72:73], v[138:139], v[100:101]
	v_fmac_f64_e32 v[110:111], v[136:137], v[100:101]
	v_fma_f64 v[136:137], v[136:137], v[102:103], -v[72:73]
	s_waitcnt lgkmcnt(2)
	v_mul_f64 v[138:139], v[134:135], v[106:107]
	;; [unrolled: 5-line block ×4, first 2 shown]
	v_mul_f64 v[72:73], v[126:127], v[184:185]
	v_fmac_f64_e32 v[102:103], v[124:125], v[184:185]
	v_fma_f64 v[124:125], v[124:125], v[186:187], -v[72:73]
	v_add_f64 v[72:73], v[64:65], v[8:9]
	v_fmac_f64_e32 v[190:191], v[112:113], v[76:77]
	v_add_f64 v[72:73], v[72:73], v[4:5]
	v_mul_f64 v[122:123], v[118:119], v[90:91]
	v_add_f64 v[72:73], v[72:73], v[190:191]
	v_fmac_f64_e32 v[122:123], v[116:117], v[88:89]
	v_add_f64 v[116:117], v[72:73], v[78:79]
	v_add_f64 v[72:73], v[4:5], v[190:191]
	v_mul_f64 v[198:199], v[114:115], v[94:95]
	v_fma_f64 v[72:73], -0.5, v[72:73], v[64:65]
	v_add_f64 v[74:75], v[2:3], -v[80:81]
	v_fmac_f64_e32 v[198:199], v[112:113], v[92:93]
	v_fma_f64 v[112:113], s[12:13], v[74:75], v[72:73]
	v_add_f64 v[82:83], v[188:189], -v[192:193]
	v_add_f64 v[76:77], v[8:9], -v[4:5]
	;; [unrolled: 1-line block ×3, first 2 shown]
	v_fmac_f64_e32 v[72:73], s[2:3], v[74:75]
	v_fmac_f64_e32 v[112:113], s[10:11], v[82:83]
	v_add_f64 v[76:77], v[76:77], v[84:85]
	v_fmac_f64_e32 v[72:73], s[4:5], v[82:83]
	v_fmac_f64_e32 v[112:113], s[8:9], v[76:77]
	;; [unrolled: 1-line block ×3, first 2 shown]
	v_add_f64 v[76:77], v[8:9], v[78:79]
	v_fmac_f64_e32 v[64:65], -0.5, v[76:77]
	v_fma_f64 v[76:77], s[2:3], v[82:83], v[64:65]
	v_fmac_f64_e32 v[64:65], s[12:13], v[82:83]
	v_fmac_f64_e32 v[76:77], s[10:11], v[74:75]
	;; [unrolled: 1-line block ×3, first 2 shown]
	v_add_f64 v[74:75], v[66:67], v[2:3]
	v_add_f64 v[74:75], v[74:75], v[188:189]
	;; [unrolled: 1-line block ×5, first 2 shown]
	v_add_f64 v[84:85], v[4:5], -v[8:9]
	v_fma_f64 v[74:75], -0.5, v[74:75], v[66:67]
	v_add_f64 v[8:9], v[8:9], -v[78:79]
	v_add_f64 v[88:89], v[190:191], -v[78:79]
	v_fma_f64 v[114:115], s[2:3], v[8:9], v[74:75]
	v_add_f64 v[4:5], v[4:5], -v[190:191]
	v_add_f64 v[78:79], v[2:3], -v[188:189]
	v_add_f64 v[82:83], v[80:81], -v[192:193]
	v_fmac_f64_e32 v[74:75], s[12:13], v[8:9]
	v_fmac_f64_e32 v[114:115], s[4:5], v[4:5]
	v_add_f64 v[78:79], v[78:79], v[82:83]
	v_fmac_f64_e32 v[74:75], s[10:11], v[4:5]
	v_fmac_f64_e32 v[114:115], s[8:9], v[78:79]
	;; [unrolled: 1-line block ×3, first 2 shown]
	v_add_f64 v[78:79], v[2:3], v[80:81]
	v_fmac_f64_e32 v[66:67], -0.5, v[78:79]
	v_fma_f64 v[78:79], s[12:13], v[4:5], v[66:67]
	v_add_f64 v[2:3], v[188:189], -v[2:3]
	v_add_f64 v[80:81], v[192:193], -v[80:81]
	v_fmac_f64_e32 v[66:67], s[2:3], v[4:5]
	v_fmac_f64_e32 v[78:79], s[4:5], v[8:9]
	v_add_f64 v[2:3], v[2:3], v[80:81]
	v_fmac_f64_e32 v[66:67], s[10:11], v[8:9]
	v_fmac_f64_e32 v[78:79], s[8:9], v[2:3]
	;; [unrolled: 1-line block ×3, first 2 shown]
	v_add_f64 v[2:3], v[60:61], v[194:195]
	v_add_f64 v[2:3], v[2:3], v[122:123]
	;; [unrolled: 1-line block ×6, first 2 shown]
	v_fma_f64 v[80:81], -0.5, v[2:3], v[60:61]
	v_add_f64 v[2:3], v[120:121], -v[96:97]
	v_fmac_f64_e32 v[76:77], s[8:9], v[84:85]
	v_fmac_f64_e32 v[64:65], s[8:9], v[84:85]
	v_fma_f64 v[84:85], s[12:13], v[2:3], v[80:81]
	v_add_f64 v[4:5], v[196:197], -v[200:201]
	v_add_f64 v[8:9], v[194:195], -v[122:123]
	v_add_f64 v[82:83], v[86:87], -v[198:199]
	v_fmac_f64_e32 v[80:81], s[2:3], v[2:3]
	v_fmac_f64_e32 v[84:85], s[10:11], v[4:5]
	v_add_f64 v[8:9], v[8:9], v[82:83]
	v_fmac_f64_e32 v[80:81], s[4:5], v[4:5]
	v_fmac_f64_e32 v[84:85], s[8:9], v[8:9]
	v_fmac_f64_e32 v[80:81], s[8:9], v[8:9]
	v_add_f64 v[8:9], v[194:195], v[86:87]
	v_fmac_f64_e32 v[60:61], -0.5, v[8:9]
	v_fma_f64 v[92:93], s[2:3], v[4:5], v[60:61]
	v_fmac_f64_e32 v[60:61], s[12:13], v[4:5]
	v_fmac_f64_e32 v[92:93], s[10:11], v[2:3]
	v_fmac_f64_e32 v[60:61], s[4:5], v[2:3]
	v_add_f64 v[2:3], v[62:63], v[120:121]
	v_add_f64 v[2:3], v[2:3], v[196:197]
	v_add_f64 v[2:3], v[2:3], v[200:201]
	v_add_f64 v[8:9], v[122:123], -v[194:195]
	v_add_f64 v[82:83], v[198:199], -v[86:87]
	v_add_f64 v[90:91], v[2:3], v[96:97]
	v_add_f64 v[2:3], v[196:197], v[200:201]
	v_add_f64 v[8:9], v[8:9], v[82:83]
	v_fma_f64 v[82:83], -0.5, v[2:3], v[62:63]
	v_add_f64 v[2:3], v[194:195], -v[86:87]
	v_fmac_f64_e32 v[92:93], s[8:9], v[8:9]
	v_fmac_f64_e32 v[60:61], s[8:9], v[8:9]
	v_fma_f64 v[86:87], s[2:3], v[2:3], v[82:83]
	v_add_f64 v[4:5], v[122:123], -v[198:199]
	v_add_f64 v[8:9], v[120:121], -v[196:197]
	v_add_f64 v[94:95], v[96:97], -v[200:201]
	v_fmac_f64_e32 v[82:83], s[12:13], v[2:3]
	v_fmac_f64_e32 v[86:87], s[4:5], v[4:5]
	v_add_f64 v[8:9], v[8:9], v[94:95]
	v_fmac_f64_e32 v[82:83], s[10:11], v[4:5]
	v_fmac_f64_e32 v[86:87], s[8:9], v[8:9]
	v_fmac_f64_e32 v[82:83], s[8:9], v[8:9]
	v_add_f64 v[8:9], v[120:121], v[96:97]
	v_fmac_f64_e32 v[62:63], -0.5, v[8:9]
	v_fma_f64 v[94:95], s[12:13], v[4:5], v[62:63]
	v_fmac_f64_e32 v[62:63], s[2:3], v[4:5]
	v_fmac_f64_e32 v[94:95], s[4:5], v[2:3]
	v_fmac_f64_e32 v[62:63], s[10:11], v[2:3]
	v_add_f64 v[2:3], v[68:69], v[110:111]
	v_add_f64 v[2:3], v[2:3], v[138:139]
	v_add_f64 v[2:3], v[2:3], v[134:135]
	v_add_f64 v[8:9], v[196:197], -v[120:121]
	v_add_f64 v[96:97], v[200:201], -v[96:97]
	v_add_f64 v[104:105], v[2:3], v[102:103]
	v_add_f64 v[2:3], v[138:139], v[134:135]
	v_add_f64 v[8:9], v[8:9], v[96:97]
	;; [unrolled: 28-line block ×3, first 2 shown]
	v_fma_f64 v[98:99], -0.5, v[2:3], v[70:71]
	v_add_f64 v[2:3], v[110:111], -v[102:103]
	v_fmac_f64_e32 v[108:109], s[8:9], v[8:9]
	v_fmac_f64_e32 v[68:69], s[8:9], v[8:9]
	v_fma_f64 v[102:103], s[2:3], v[2:3], v[98:99]
	v_add_f64 v[4:5], v[138:139], -v[134:135]
	v_add_f64 v[8:9], v[136:137], -v[132:133]
	;; [unrolled: 1-line block ×3, first 2 shown]
	v_fmac_f64_e32 v[98:99], s[12:13], v[2:3]
	v_fmac_f64_e32 v[102:103], s[4:5], v[4:5]
	v_add_f64 v[8:9], v[8:9], v[110:111]
	v_fmac_f64_e32 v[98:99], s[10:11], v[4:5]
	v_fmac_f64_e32 v[102:103], s[8:9], v[8:9]
	;; [unrolled: 1-line block ×3, first 2 shown]
	v_add_f64 v[8:9], v[136:137], v[124:125]
	v_fmac_f64_e32 v[70:71], -0.5, v[8:9]
	v_fma_f64 v[110:111], s[12:13], v[4:5], v[70:71]
	v_add_f64 v[8:9], v[132:133], -v[136:137]
	v_add_f64 v[120:121], v[128:129], -v[124:125]
	v_fmac_f64_e32 v[70:71], s[2:3], v[4:5]
	v_fmac_f64_e32 v[110:111], s[4:5], v[2:3]
	v_add_f64 v[8:9], v[8:9], v[120:121]
	v_fmac_f64_e32 v[70:71], s[10:11], v[2:3]
	v_fmac_f64_e32 v[110:111], s[8:9], v[8:9]
	;; [unrolled: 1-line block ×3, first 2 shown]
	s_barrier
	ds_write_b128 v0, v[116:119]
	ds_write_b128 v0, v[112:115] offset:400
	ds_write_b128 v0, v[76:79] offset:800
	;; [unrolled: 1-line block ×14, first 2 shown]
	s_waitcnt lgkmcnt(0)
	s_barrier
	ds_read_b128 v[60:63], v0
	ds_read_b128 v[2:5], v0 offset:2000
	ds_read_b128 v[8:11], v0 offset:4000
	;; [unrolled: 1-line block ×14, first 2 shown]
	s_waitcnt lgkmcnt(13)
	v_mul_f64 v[112:113], v[146:147], v[4:5]
	v_fmac_f64_e32 v[112:113], v[144:145], v[2:3]
	v_mul_f64 v[2:3], v[146:147], v[2:3]
	v_fma_f64 v[114:115], v[144:145], v[4:5], -v[2:3]
	s_waitcnt lgkmcnt(12)
	v_mul_f64 v[2:3], v[142:143], v[8:9]
	v_mul_f64 v[116:117], v[142:143], v[10:11]
	v_fma_f64 v[10:11], v[140:141], v[10:11], -v[2:3]
	s_waitcnt lgkmcnt(10)
	v_mul_f64 v[2:3], v[154:155], v[80:81]
	v_fma_f64 v[120:121], v[152:153], v[82:83], -v[2:3]
	s_waitcnt lgkmcnt(9)
	v_mul_f64 v[2:3], v[150:151], v[84:85]
	v_mul_f64 v[122:123], v[150:151], v[86:87]
	v_fma_f64 v[86:87], v[148:149], v[86:87], -v[2:3]
	s_waitcnt lgkmcnt(7)
	;; [unrolled: 7-line block ×3, first 2 shown]
	v_mul_f64 v[2:3], v[170:171], v[96:97]
	v_fma_f64 v[132:133], v[168:169], v[98:99], -v[2:3]
	s_waitcnt lgkmcnt(3)
	v_mul_f64 v[2:3], v[166:167], v[100:101]
	v_fmac_f64_e32 v[116:117], v[140:141], v[8:9]
	v_mul_f64 v[134:135], v[166:167], v[102:103]
	v_fma_f64 v[102:103], v[164:165], v[102:103], -v[2:3]
	s_waitcnt lgkmcnt(1)
	v_mul_f64 v[2:3], v[178:179], v[104:105]
	v_fma_f64 v[138:139], v[176:177], v[106:107], -v[2:3]
	s_waitcnt lgkmcnt(0)
	v_mul_f64 v[2:3], v[174:175], v[108:109]
	v_add_f64 v[4:5], v[112:113], v[116:117]
	v_mul_f64 v[140:141], v[174:175], v[110:111]
	v_fma_f64 v[110:111], v[172:173], v[110:111], -v[2:3]
	v_add_f64 v[2:3], v[60:61], v[112:113]
	v_fmac_f64_e32 v[60:61], -0.5, v[4:5]
	v_add_f64 v[4:5], v[114:115], -v[10:11]
	v_mul_f64 v[118:119], v[154:155], v[82:83]
	v_fma_f64 v[8:9], s[14:15], v[4:5], v[60:61]
	v_fmac_f64_e32 v[60:61], s[6:7], v[4:5]
	v_add_f64 v[4:5], v[62:63], v[114:115]
	v_fmac_f64_e32 v[118:119], v[152:153], v[80:81]
	v_fmac_f64_e32 v[122:123], v[148:149], v[84:85]
	v_add_f64 v[4:5], v[4:5], v[10:11]
	v_add_f64 v[10:11], v[114:115], v[10:11]
	v_fmac_f64_e32 v[62:63], -0.5, v[10:11]
	v_add_f64 v[80:81], v[112:113], -v[116:117]
	v_add_f64 v[82:83], v[118:119], v[122:123]
	v_fma_f64 v[10:11], s[6:7], v[80:81], v[62:63]
	v_fmac_f64_e32 v[62:63], s[14:15], v[80:81]
	v_add_f64 v[80:81], v[64:65], v[118:119]
	v_fmac_f64_e32 v[64:65], -0.5, v[82:83]
	v_add_f64 v[82:83], v[120:121], -v[86:87]
	v_mul_f64 v[124:125], v[162:163], v[90:91]
	v_fma_f64 v[84:85], s[14:15], v[82:83], v[64:65]
	v_fmac_f64_e32 v[64:65], s[6:7], v[82:83]
	v_add_f64 v[82:83], v[66:67], v[120:121]
	v_fmac_f64_e32 v[124:125], v[160:161], v[88:89]
	v_fmac_f64_e32 v[128:129], v[156:157], v[92:93]
	v_add_f64 v[82:83], v[82:83], v[86:87]
	v_add_f64 v[86:87], v[120:121], v[86:87]
	v_fmac_f64_e32 v[66:67], -0.5, v[86:87]
	v_add_f64 v[88:89], v[118:119], -v[122:123]
	v_add_f64 v[90:91], v[124:125], v[128:129]
	v_fma_f64 v[86:87], s[6:7], v[88:89], v[66:67]
	v_fmac_f64_e32 v[66:67], s[14:15], v[88:89]
	v_add_f64 v[88:89], v[68:69], v[124:125]
	v_fmac_f64_e32 v[68:69], -0.5, v[90:91]
	v_add_f64 v[90:91], v[126:127], -v[94:95]
	v_mul_f64 v[130:131], v[170:171], v[98:99]
	v_fma_f64 v[92:93], s[14:15], v[90:91], v[68:69]
	v_fmac_f64_e32 v[68:69], s[6:7], v[90:91]
	v_add_f64 v[90:91], v[70:71], v[126:127]
	v_fmac_f64_e32 v[130:131], v[168:169], v[96:97]
	v_fmac_f64_e32 v[134:135], v[164:165], v[100:101]
	v_add_f64 v[90:91], v[90:91], v[94:95]
	v_add_f64 v[94:95], v[126:127], v[94:95]
	v_fmac_f64_e32 v[70:71], -0.5, v[94:95]
	v_add_f64 v[96:97], v[124:125], -v[128:129]
	v_add_f64 v[98:99], v[130:131], v[134:135]
	v_fma_f64 v[94:95], s[6:7], v[96:97], v[70:71]
	v_fmac_f64_e32 v[70:71], s[14:15], v[96:97]
	v_add_f64 v[96:97], v[72:73], v[130:131]
	v_fmac_f64_e32 v[72:73], -0.5, v[98:99]
	v_add_f64 v[98:99], v[132:133], -v[102:103]
	v_mul_f64 v[136:137], v[178:179], v[106:107]
	v_fma_f64 v[100:101], s[14:15], v[98:99], v[72:73]
	v_fmac_f64_e32 v[72:73], s[6:7], v[98:99]
	v_add_f64 v[98:99], v[74:75], v[132:133]
	v_fmac_f64_e32 v[136:137], v[176:177], v[104:105]
	v_fmac_f64_e32 v[140:141], v[172:173], v[108:109]
	v_add_f64 v[98:99], v[98:99], v[102:103]
	v_add_f64 v[102:103], v[132:133], v[102:103]
	v_fmac_f64_e32 v[74:75], -0.5, v[102:103]
	v_add_f64 v[104:105], v[130:131], -v[134:135]
	v_add_f64 v[106:107], v[136:137], v[140:141]
	v_fma_f64 v[102:103], s[6:7], v[104:105], v[74:75]
	v_fmac_f64_e32 v[74:75], s[14:15], v[104:105]
	v_add_f64 v[104:105], v[76:77], v[136:137]
	v_fmac_f64_e32 v[76:77], -0.5, v[106:107]
	v_add_f64 v[106:107], v[138:139], -v[110:111]
	v_fma_f64 v[108:109], s[14:15], v[106:107], v[76:77]
	v_fmac_f64_e32 v[76:77], s[6:7], v[106:107]
	v_add_f64 v[106:107], v[78:79], v[138:139]
	v_add_f64 v[106:107], v[106:107], v[110:111]
	v_add_f64 v[110:111], v[138:139], v[110:111]
	v_add_f64 v[2:3], v[2:3], v[116:117]
	v_fmac_f64_e32 v[78:79], -0.5, v[110:111]
	v_add_f64 v[112:113], v[136:137], -v[140:141]
	v_add_f64 v[80:81], v[80:81], v[122:123]
	v_add_f64 v[88:89], v[88:89], v[128:129]
	;; [unrolled: 1-line block ×4, first 2 shown]
	v_fma_f64 v[110:111], s[6:7], v[112:113], v[78:79]
	v_fmac_f64_e32 v[78:79], s[14:15], v[112:113]
	ds_write_b128 v0, v[2:5]
	ds_write_b128 v0, v[8:11] offset:2000
	ds_write_b128 v0, v[60:63] offset:4000
	;; [unrolled: 1-line block ×14, first 2 shown]
	s_waitcnt lgkmcnt(0)
	s_barrier
	ds_read_b128 v[2:5], v0
	s_mov_b32 s2, 0xc3ece2a5
	s_mov_b32 s3, 0x3f65d867
	s_waitcnt lgkmcnt(0)
	v_mul_f64 v[8:9], v[26:27], v[4:5]
	v_fmac_f64_e32 v[8:9], v[24:25], v[2:3]
	v_mul_f64 v[2:3], v[26:27], v[2:3]
	v_fma_f64 v[2:3], v[24:25], v[4:5], -v[2:3]
	v_mul_f64 v[10:11], v[2:3], s[2:3]
	v_mad_u64_u32 v[2:3], s[4:5], s0, v6, 0
	v_mov_b32_e32 v4, v3
	v_mad_u64_u32 v[4:5], s[4:5], s1, v6, v[4:5]
	v_mov_b32_e32 v3, v4
	v_accvgpr_read_b32 v4, a12
	v_accvgpr_read_b32 v6, a14
	;; [unrolled: 1-line block ×4, first 2 shown]
	v_lshl_add_u64 v[4:5], v[6:7], 4, v[4:5]
	v_lshl_add_u64 v[24:25], v[2:3], 4, v[4:5]
	ds_read_b128 v[2:5], v0 offset:1200
	v_mul_f64 v[8:9], v[8:9], s[2:3]
	global_store_dwordx4 v[24:25], v[8:11], off
	s_waitcnt lgkmcnt(0)
	v_mul_f64 v[6:7], v[38:39], v[4:5]
	v_fmac_f64_e32 v[6:7], v[36:37], v[2:3]
	v_mul_f64 v[2:3], v[38:39], v[2:3]
	v_fma_f64 v[2:3], v[36:37], v[4:5], -v[2:3]
	v_mul_f64 v[8:9], v[2:3], s[2:3]
	ds_read_b128 v[2:5], v0 offset:2400
	v_mad_u64_u32 v[10:11], s[4:5], s0, v1, v[24:25]
	s_mul_i32 s4, s1, 0x4b0
	v_mul_f64 v[6:7], v[6:7], s[2:3]
	v_add_u32_e32 v11, s4, v11
	global_store_dwordx4 v[10:11], v[6:9], off
	v_mad_u64_u32 v[10:11], s[6:7], s0, v1, v[10:11]
	s_waitcnt lgkmcnt(0)
	v_mul_f64 v[6:7], v[46:47], v[4:5]
	v_fmac_f64_e32 v[6:7], v[44:45], v[2:3]
	v_mul_f64 v[2:3], v[46:47], v[2:3]
	v_fma_f64 v[2:3], v[44:45], v[4:5], -v[2:3]
	v_mul_f64 v[8:9], v[2:3], s[2:3]
	ds_read_b128 v[2:5], v0 offset:3600
	v_mul_f64 v[6:7], v[6:7], s[2:3]
	v_add_u32_e32 v11, s4, v11
	global_store_dwordx4 v[10:11], v[6:9], off
	v_mad_u64_u32 v[10:11], s[6:7], s0, v1, v[10:11]
	s_waitcnt lgkmcnt(0)
	v_mul_f64 v[6:7], v[54:55], v[4:5]
	v_fmac_f64_e32 v[6:7], v[52:53], v[2:3]
	v_mul_f64 v[2:3], v[54:55], v[2:3]
	v_fma_f64 v[2:3], v[52:53], v[4:5], -v[2:3]
	v_mul_f64 v[8:9], v[2:3], s[2:3]
	ds_read_b128 v[2:5], v0 offset:4800
	;; [unrolled: 11-line block ×3, first 2 shown]
	v_mul_f64 v[6:7], v[6:7], s[2:3]
	v_add_u32_e32 v11, s4, v11
	global_store_dwordx4 v[10:11], v[6:9], off
	s_mulk_i32 s1, 0xeed0
	s_sub_i32 s1, s1, s0
	s_waitcnt lgkmcnt(0)
	v_mul_f64 v[6:7], v[22:23], v[4:5]
	v_fmac_f64_e32 v[6:7], v[20:21], v[2:3]
	v_mul_f64 v[2:3], v[22:23], v[2:3]
	v_fma_f64 v[2:3], v[20:21], v[4:5], -v[2:3]
	v_mul_f64 v[8:9], v[2:3], s[2:3]
	ds_read_b128 v[2:5], v0 offset:1600
	v_mov_b32_e32 v20, 0xffffeed0
	v_mad_u64_u32 v[10:11], s[6:7], s0, v20, v[10:11]
	v_mul_f64 v[6:7], v[6:7], s[2:3]
	v_add_u32_e32 v11, s1, v11
	global_store_dwordx4 v[10:11], v[6:9], off
	v_mad_u64_u32 v[10:11], s[6:7], s0, v1, v[10:11]
	s_waitcnt lgkmcnt(0)
	v_mul_f64 v[6:7], v[30:31], v[4:5]
	v_fmac_f64_e32 v[6:7], v[28:29], v[2:3]
	v_mul_f64 v[2:3], v[30:31], v[2:3]
	v_fma_f64 v[2:3], v[28:29], v[4:5], -v[2:3]
	v_mul_f64 v[8:9], v[2:3], s[2:3]
	ds_read_b128 v[2:5], v0 offset:2800
	v_mul_f64 v[6:7], v[6:7], s[2:3]
	v_add_u32_e32 v11, s4, v11
	global_store_dwordx4 v[10:11], v[6:9], off
	v_mad_u64_u32 v[10:11], s[6:7], s0, v1, v[10:11]
	s_waitcnt lgkmcnt(0)
	v_mul_f64 v[6:7], v[34:35], v[4:5]
	v_fmac_f64_e32 v[6:7], v[32:33], v[2:3]
	v_mul_f64 v[2:3], v[34:35], v[2:3]
	v_fma_f64 v[2:3], v[32:33], v[4:5], -v[2:3]
	v_mul_f64 v[8:9], v[2:3], s[2:3]
	ds_read_b128 v[2:5], v0 offset:4000
	;; [unrolled: 11-line block ×6, first 2 shown]
	v_accvgpr_read_b32 v15, a11
	v_mul_f64 v[6:7], v[6:7], s[2:3]
	v_add_u32_e32 v11, s4, v11
	v_accvgpr_read_b32 v14, a10
	global_store_dwordx4 v[10:11], v[6:9], off
	v_accvgpr_read_b32 v13, a9
	v_accvgpr_read_b32 v12, a8
	s_waitcnt lgkmcnt(0)
	v_mul_f64 v[6:7], v[14:15], v[4:5]
	v_fmac_f64_e32 v[6:7], v[12:13], v[2:3]
	v_mul_f64 v[2:3], v[14:15], v[2:3]
	v_fma_f64 v[2:3], v[12:13], v[4:5], -v[2:3]
	v_mul_f64 v[8:9], v[2:3], s[2:3]
	ds_read_b128 v[2:5], v0 offset:4400
	v_mad_u64_u32 v[10:11], s[6:7], s0, v1, v[10:11]
	v_accvgpr_read_b32 v15, a3
	v_mul_f64 v[6:7], v[6:7], s[2:3]
	v_add_u32_e32 v11, s4, v11
	v_accvgpr_read_b32 v14, a2
	global_store_dwordx4 v[10:11], v[6:9], off
	v_accvgpr_read_b32 v13, a1
	v_accvgpr_read_b32 v12, a0
	s_waitcnt lgkmcnt(0)
	v_mul_f64 v[6:7], v[14:15], v[4:5]
	v_fmac_f64_e32 v[6:7], v[12:13], v[2:3]
	v_mul_f64 v[2:3], v[14:15], v[2:3]
	v_fma_f64 v[2:3], v[12:13], v[4:5], -v[2:3]
	v_mul_f64 v[8:9], v[2:3], s[2:3]
	ds_read_b128 v[2:5], v0 offset:5600
	v_mad_u64_u32 v[10:11], s[6:7], s0, v1, v[10:11]
	v_accvgpr_read_b32 v15, a7
	v_mul_f64 v[6:7], v[6:7], s[2:3]
	v_add_u32_e32 v11, s4, v11
	v_accvgpr_read_b32 v14, a6
	global_store_dwordx4 v[10:11], v[6:9], off
	v_accvgpr_read_b32 v13, a5
	v_accvgpr_read_b32 v12, a4
	s_waitcnt lgkmcnt(0)
	v_mul_f64 v[6:7], v[14:15], v[4:5]
	v_fmac_f64_e32 v[6:7], v[12:13], v[2:3]
	v_mul_f64 v[2:3], v[14:15], v[2:3]
	v_fma_f64 v[2:3], v[12:13], v[4:5], -v[2:3]
	v_mad_u64_u32 v[0:1], s[0:1], s0, v1, v[10:11]
	v_mul_f64 v[6:7], v[6:7], s[2:3]
	v_mul_f64 v[8:9], v[2:3], s[2:3]
	v_add_u32_e32 v1, s4, v1
	global_store_dwordx4 v[0:1], v[6:9], off
.LBB0_2:
	s_endpgm
	.section	.rodata,"a",@progbits
	.p2align	6, 0x0
	.amdhsa_kernel bluestein_single_fwd_len375_dim1_dp_op_CI_CI
		.amdhsa_group_segment_fixed_size 30000
		.amdhsa_private_segment_fixed_size 0
		.amdhsa_kernarg_size 104
		.amdhsa_user_sgpr_count 2
		.amdhsa_user_sgpr_dispatch_ptr 0
		.amdhsa_user_sgpr_queue_ptr 0
		.amdhsa_user_sgpr_kernarg_segment_ptr 1
		.amdhsa_user_sgpr_dispatch_id 0
		.amdhsa_user_sgpr_kernarg_preload_length 0
		.amdhsa_user_sgpr_kernarg_preload_offset 0
		.amdhsa_user_sgpr_private_segment_size 0
		.amdhsa_uses_dynamic_stack 0
		.amdhsa_enable_private_segment 0
		.amdhsa_system_sgpr_workgroup_id_x 1
		.amdhsa_system_sgpr_workgroup_id_y 0
		.amdhsa_system_sgpr_workgroup_id_z 0
		.amdhsa_system_sgpr_workgroup_info 0
		.amdhsa_system_vgpr_workitem_id 0
		.amdhsa_next_free_vgpr 272
		.amdhsa_next_free_sgpr 18
		.amdhsa_accum_offset 256
		.amdhsa_reserve_vcc 1
		.amdhsa_float_round_mode_32 0
		.amdhsa_float_round_mode_16_64 0
		.amdhsa_float_denorm_mode_32 3
		.amdhsa_float_denorm_mode_16_64 3
		.amdhsa_dx10_clamp 1
		.amdhsa_ieee_mode 1
		.amdhsa_fp16_overflow 0
		.amdhsa_tg_split 0
		.amdhsa_exception_fp_ieee_invalid_op 0
		.amdhsa_exception_fp_denorm_src 0
		.amdhsa_exception_fp_ieee_div_zero 0
		.amdhsa_exception_fp_ieee_overflow 0
		.amdhsa_exception_fp_ieee_underflow 0
		.amdhsa_exception_fp_ieee_inexact 0
		.amdhsa_exception_int_div_zero 0
	.end_amdhsa_kernel
	.text
.Lfunc_end0:
	.size	bluestein_single_fwd_len375_dim1_dp_op_CI_CI, .Lfunc_end0-bluestein_single_fwd_len375_dim1_dp_op_CI_CI
                                        ; -- End function
	.section	.AMDGPU.csdata,"",@progbits
; Kernel info:
; codeLenInByte = 16088
; NumSgprs: 24
; NumVgprs: 256
; NumAgprs: 16
; TotalNumVgprs: 272
; ScratchSize: 0
; MemoryBound: 0
; FloatMode: 240
; IeeeMode: 1
; LDSByteSize: 30000 bytes/workgroup (compile time only)
; SGPRBlocks: 2
; VGPRBlocks: 33
; NumSGPRsForWavesPerEU: 24
; NumVGPRsForWavesPerEU: 272
; AccumOffset: 256
; Occupancy: 1
; WaveLimiterHint : 1
; COMPUTE_PGM_RSRC2:SCRATCH_EN: 0
; COMPUTE_PGM_RSRC2:USER_SGPR: 2
; COMPUTE_PGM_RSRC2:TRAP_HANDLER: 0
; COMPUTE_PGM_RSRC2:TGID_X_EN: 1
; COMPUTE_PGM_RSRC2:TGID_Y_EN: 0
; COMPUTE_PGM_RSRC2:TGID_Z_EN: 0
; COMPUTE_PGM_RSRC2:TIDIG_COMP_CNT: 0
; COMPUTE_PGM_RSRC3_GFX90A:ACCUM_OFFSET: 63
; COMPUTE_PGM_RSRC3_GFX90A:TG_SPLIT: 0
	.text
	.p2alignl 6, 3212836864
	.fill 256, 4, 3212836864
	.type	__hip_cuid_9f9e53354254ae1c,@object ; @__hip_cuid_9f9e53354254ae1c
	.section	.bss,"aw",@nobits
	.globl	__hip_cuid_9f9e53354254ae1c
__hip_cuid_9f9e53354254ae1c:
	.byte	0                               ; 0x0
	.size	__hip_cuid_9f9e53354254ae1c, 1

	.ident	"AMD clang version 19.0.0git (https://github.com/RadeonOpenCompute/llvm-project roc-6.4.0 25133 c7fe45cf4b819c5991fe208aaa96edf142730f1d)"
	.section	".note.GNU-stack","",@progbits
	.addrsig
	.addrsig_sym __hip_cuid_9f9e53354254ae1c
	.amdgpu_metadata
---
amdhsa.kernels:
  - .agpr_count:     16
    .args:
      - .actual_access:  read_only
        .address_space:  global
        .offset:         0
        .size:           8
        .value_kind:     global_buffer
      - .actual_access:  read_only
        .address_space:  global
        .offset:         8
        .size:           8
        .value_kind:     global_buffer
      - .actual_access:  read_only
        .address_space:  global
        .offset:         16
        .size:           8
        .value_kind:     global_buffer
      - .actual_access:  read_only
        .address_space:  global
        .offset:         24
        .size:           8
        .value_kind:     global_buffer
      - .actual_access:  read_only
        .address_space:  global
        .offset:         32
        .size:           8
        .value_kind:     global_buffer
      - .offset:         40
        .size:           8
        .value_kind:     by_value
      - .address_space:  global
        .offset:         48
        .size:           8
        .value_kind:     global_buffer
      - .address_space:  global
        .offset:         56
        .size:           8
        .value_kind:     global_buffer
      - .address_space:  global
        .offset:         64
        .size:           8
        .value_kind:     global_buffer
      - .address_space:  global
        .offset:         72
        .size:           8
        .value_kind:     global_buffer
      - .offset:         80
        .size:           4
        .value_kind:     by_value
      - .address_space:  global
        .offset:         88
        .size:           8
        .value_kind:     global_buffer
      - .address_space:  global
        .offset:         96
        .size:           8
        .value_kind:     global_buffer
    .group_segment_fixed_size: 30000
    .kernarg_segment_align: 8
    .kernarg_segment_size: 104
    .language:       OpenCL C
    .language_version:
      - 2
      - 0
    .max_flat_workgroup_size: 125
    .name:           bluestein_single_fwd_len375_dim1_dp_op_CI_CI
    .private_segment_fixed_size: 0
    .sgpr_count:     24
    .sgpr_spill_count: 0
    .symbol:         bluestein_single_fwd_len375_dim1_dp_op_CI_CI.kd
    .uniform_work_group_size: 1
    .uses_dynamic_stack: false
    .vgpr_count:     272
    .vgpr_spill_count: 0
    .wavefront_size: 64
amdhsa.target:   amdgcn-amd-amdhsa--gfx950
amdhsa.version:
  - 1
  - 2
...

	.end_amdgpu_metadata
